;; amdgpu-corpus repo=ROCm/rocFFT kind=compiled arch=gfx950 opt=O3
	.text
	.amdgcn_target "amdgcn-amd-amdhsa--gfx950"
	.amdhsa_code_object_version 6
	.protected	fft_rtc_back_len1452_factors_11_3_11_4_wgs_132_tpt_132_halfLds_sp_op_CI_CI_unitstride_sbrr_R2C_dirReg ; -- Begin function fft_rtc_back_len1452_factors_11_3_11_4_wgs_132_tpt_132_halfLds_sp_op_CI_CI_unitstride_sbrr_R2C_dirReg
	.globl	fft_rtc_back_len1452_factors_11_3_11_4_wgs_132_tpt_132_halfLds_sp_op_CI_CI_unitstride_sbrr_R2C_dirReg
	.p2align	8
	.type	fft_rtc_back_len1452_factors_11_3_11_4_wgs_132_tpt_132_halfLds_sp_op_CI_CI_unitstride_sbrr_R2C_dirReg,@function
fft_rtc_back_len1452_factors_11_3_11_4_wgs_132_tpt_132_halfLds_sp_op_CI_CI_unitstride_sbrr_R2C_dirReg: ; @fft_rtc_back_len1452_factors_11_3_11_4_wgs_132_tpt_132_halfLds_sp_op_CI_CI_unitstride_sbrr_R2C_dirReg
; %bb.0:
	s_load_dwordx4 s[4:7], s[0:1], 0x58
	s_load_dwordx4 s[8:11], s[0:1], 0x0
	;; [unrolled: 1-line block ×3, first 2 shown]
	v_mul_u32_u24_e32 v1, 0x1f1, v0
	v_add_u32_sdwa v6, s2, v1 dst_sel:DWORD dst_unused:UNUSED_PAD src0_sel:DWORD src1_sel:WORD_1
	v_mov_b32_e32 v4, 0
	s_waitcnt lgkmcnt(0)
	v_cmp_lt_u64_e64 s[2:3], s[10:11], 2
	v_mov_b32_e32 v7, v4
	s_and_b64 vcc, exec, s[2:3]
	v_mov_b64_e32 v[2:3], 0
	s_cbranch_vccnz .LBB0_8
; %bb.1:
	s_load_dwordx2 s[2:3], s[0:1], 0x10
	s_add_u32 s16, s14, 8
	s_addc_u32 s17, s15, 0
	s_add_u32 s18, s12, 8
	s_addc_u32 s19, s13, 0
	s_waitcnt lgkmcnt(0)
	s_add_u32 s20, s2, 8
	v_mov_b64_e32 v[2:3], 0
	s_addc_u32 s21, s3, 0
	s_mov_b64 s[22:23], 1
	v_mov_b64_e32 v[12:13], v[2:3]
.LBB0_2:                                ; =>This Inner Loop Header: Depth=1
	s_load_dwordx2 s[24:25], s[20:21], 0x0
                                        ; implicit-def: $vgpr14_vgpr15
	s_waitcnt lgkmcnt(0)
	v_or_b32_e32 v5, s25, v7
	v_cmp_ne_u64_e32 vcc, 0, v[4:5]
	s_and_saveexec_b64 s[2:3], vcc
	s_xor_b64 s[26:27], exec, s[2:3]
	s_cbranch_execz .LBB0_4
; %bb.3:                                ;   in Loop: Header=BB0_2 Depth=1
	v_cvt_f32_u32_e32 v1, s24
	v_cvt_f32_u32_e32 v5, s25
	s_sub_u32 s2, 0, s24
	s_subb_u32 s3, 0, s25
	v_fmac_f32_e32 v1, 0x4f800000, v5
	v_rcp_f32_e32 v1, v1
	s_nop 0
	v_mul_f32_e32 v1, 0x5f7ffffc, v1
	v_mul_f32_e32 v5, 0x2f800000, v1
	v_trunc_f32_e32 v5, v5
	v_fmac_f32_e32 v1, 0xcf800000, v5
	v_cvt_u32_f32_e32 v5, v5
	v_cvt_u32_f32_e32 v1, v1
	v_mul_lo_u32 v8, s2, v5
	v_mul_hi_u32 v10, s2, v1
	v_mul_lo_u32 v9, s3, v1
	v_add_u32_e32 v10, v10, v8
	v_mul_lo_u32 v14, s2, v1
	v_add_u32_e32 v15, v10, v9
	v_mul_hi_u32 v8, v1, v14
	v_mul_hi_u32 v11, v1, v15
	v_mul_lo_u32 v10, v1, v15
	v_mov_b32_e32 v9, v4
	v_lshl_add_u64 v[8:9], v[8:9], 0, v[10:11]
	v_mul_hi_u32 v11, v5, v14
	v_mul_lo_u32 v14, v5, v14
	v_add_co_u32_e32 v8, vcc, v8, v14
	v_mul_hi_u32 v10, v5, v15
	s_nop 0
	v_addc_co_u32_e32 v8, vcc, v9, v11, vcc
	v_mov_b32_e32 v9, v4
	s_nop 0
	v_addc_co_u32_e32 v11, vcc, 0, v10, vcc
	v_mul_lo_u32 v10, v5, v15
	v_lshl_add_u64 v[8:9], v[8:9], 0, v[10:11]
	v_add_co_u32_e32 v1, vcc, v1, v8
	v_mul_lo_u32 v10, s2, v1
	s_nop 0
	v_addc_co_u32_e32 v5, vcc, v5, v9, vcc
	v_mul_lo_u32 v8, s2, v5
	v_mul_hi_u32 v9, s2, v1
	v_add_u32_e32 v8, v9, v8
	v_mul_lo_u32 v9, s3, v1
	v_add_u32_e32 v14, v8, v9
	v_mul_hi_u32 v16, v5, v10
	v_mul_lo_u32 v17, v5, v10
	v_mul_hi_u32 v9, v1, v14
	v_mul_lo_u32 v8, v1, v14
	v_mul_hi_u32 v10, v1, v10
	v_mov_b32_e32 v11, v4
	v_lshl_add_u64 v[8:9], v[10:11], 0, v[8:9]
	v_add_co_u32_e32 v8, vcc, v8, v17
	v_mul_hi_u32 v15, v5, v14
	s_nop 0
	v_addc_co_u32_e32 v8, vcc, v9, v16, vcc
	v_mul_lo_u32 v10, v5, v14
	s_nop 0
	v_addc_co_u32_e32 v11, vcc, 0, v15, vcc
	v_mov_b32_e32 v9, v4
	v_lshl_add_u64 v[8:9], v[8:9], 0, v[10:11]
	v_add_co_u32_e32 v1, vcc, v1, v8
	v_mul_hi_u32 v10, v6, v1
	s_nop 0
	v_addc_co_u32_e32 v5, vcc, v5, v9, vcc
	v_mad_u64_u32 v[8:9], s[2:3], v6, v5, 0
	v_mov_b32_e32 v11, v4
	v_lshl_add_u64 v[8:9], v[10:11], 0, v[8:9]
	v_mad_u64_u32 v[14:15], s[2:3], v7, v1, 0
	v_add_co_u32_e32 v1, vcc, v8, v14
	v_mad_u64_u32 v[10:11], s[2:3], v7, v5, 0
	s_nop 0
	v_addc_co_u32_e32 v8, vcc, v9, v15, vcc
	v_mov_b32_e32 v9, v4
	s_nop 0
	v_addc_co_u32_e32 v11, vcc, 0, v11, vcc
	v_lshl_add_u64 v[8:9], v[8:9], 0, v[10:11]
	v_mul_lo_u32 v1, s25, v8
	v_mul_lo_u32 v5, s24, v9
	v_mad_u64_u32 v[10:11], s[2:3], s24, v8, 0
	v_add3_u32 v1, v11, v5, v1
	v_sub_u32_e32 v5, v7, v1
	v_mov_b32_e32 v11, s25
	v_sub_co_u32_e32 v16, vcc, v6, v10
	v_lshl_add_u64 v[14:15], v[8:9], 0, 1
	s_nop 0
	v_subb_co_u32_e64 v5, s[2:3], v5, v11, vcc
	v_subrev_co_u32_e64 v10, s[2:3], s24, v16
	v_subb_co_u32_e32 v1, vcc, v7, v1, vcc
	s_nop 0
	v_subbrev_co_u32_e64 v5, s[2:3], 0, v5, s[2:3]
	v_cmp_le_u32_e64 s[2:3], s25, v5
	v_cmp_le_u32_e32 vcc, s25, v1
	s_nop 0
	v_cndmask_b32_e64 v11, 0, -1, s[2:3]
	v_cmp_le_u32_e64 s[2:3], s24, v10
	s_nop 1
	v_cndmask_b32_e64 v10, 0, -1, s[2:3]
	v_cmp_eq_u32_e64 s[2:3], s25, v5
	s_nop 1
	v_cndmask_b32_e64 v5, v11, v10, s[2:3]
	v_lshl_add_u64 v[10:11], v[8:9], 0, 2
	v_cmp_ne_u32_e64 s[2:3], 0, v5
	s_nop 1
	v_cndmask_b32_e64 v5, v15, v11, s[2:3]
	v_cndmask_b32_e64 v11, 0, -1, vcc
	v_cmp_le_u32_e32 vcc, s24, v16
	s_nop 1
	v_cndmask_b32_e64 v15, 0, -1, vcc
	v_cmp_eq_u32_e32 vcc, s25, v1
	s_nop 1
	v_cndmask_b32_e32 v1, v11, v15, vcc
	v_cmp_ne_u32_e32 vcc, 0, v1
	v_cndmask_b32_e64 v1, v14, v10, s[2:3]
	s_nop 0
	v_cndmask_b32_e32 v15, v9, v5, vcc
	v_cndmask_b32_e32 v14, v8, v1, vcc
.LBB0_4:                                ;   in Loop: Header=BB0_2 Depth=1
	s_andn2_saveexec_b64 s[2:3], s[26:27]
	s_cbranch_execz .LBB0_6
; %bb.5:                                ;   in Loop: Header=BB0_2 Depth=1
	v_cvt_f32_u32_e32 v1, s24
	s_sub_i32 s26, 0, s24
	v_mov_b32_e32 v15, v4
	v_rcp_iflag_f32_e32 v1, v1
	s_nop 0
	v_mul_f32_e32 v1, 0x4f7ffffe, v1
	v_cvt_u32_f32_e32 v1, v1
	v_mul_lo_u32 v5, s26, v1
	v_mul_hi_u32 v5, v1, v5
	v_add_u32_e32 v1, v1, v5
	v_mul_hi_u32 v1, v6, v1
	v_mul_lo_u32 v5, v1, s24
	v_sub_u32_e32 v5, v6, v5
	v_add_u32_e32 v8, 1, v1
	v_subrev_u32_e32 v9, s24, v5
	v_cmp_le_u32_e32 vcc, s24, v5
	s_nop 1
	v_cndmask_b32_e32 v5, v5, v9, vcc
	v_cndmask_b32_e32 v1, v1, v8, vcc
	v_add_u32_e32 v8, 1, v1
	v_cmp_le_u32_e32 vcc, s24, v5
	s_nop 1
	v_cndmask_b32_e32 v14, v1, v8, vcc
.LBB0_6:                                ;   in Loop: Header=BB0_2 Depth=1
	s_or_b64 exec, exec, s[2:3]
	v_mad_u64_u32 v[8:9], s[2:3], v14, s24, 0
	s_load_dwordx2 s[2:3], s[18:19], 0x0
	v_mul_lo_u32 v1, v15, s24
	v_mul_lo_u32 v5, v14, s25
	s_load_dwordx2 s[24:25], s[16:17], 0x0
	s_add_u32 s22, s22, 1
	v_add3_u32 v1, v9, v5, v1
	v_sub_co_u32_e32 v5, vcc, v6, v8
	s_addc_u32 s23, s23, 0
	s_nop 0
	v_subb_co_u32_e32 v1, vcc, v7, v1, vcc
	s_add_u32 s16, s16, 8
	s_waitcnt lgkmcnt(0)
	v_mul_lo_u32 v6, s2, v1
	v_mul_lo_u32 v7, s3, v5
	v_mad_u64_u32 v[2:3], s[2:3], s2, v5, v[2:3]
	s_addc_u32 s17, s17, 0
	v_add3_u32 v3, v7, v3, v6
	v_mul_lo_u32 v1, s24, v1
	v_mul_lo_u32 v6, s25, v5
	v_mad_u64_u32 v[12:13], s[2:3], s24, v5, v[12:13]
	s_add_u32 s18, s18, 8
	v_add3_u32 v13, v6, v13, v1
	s_addc_u32 s19, s19, 0
	v_mov_b64_e32 v[6:7], s[10:11]
	s_add_u32 s20, s20, 8
	v_cmp_ge_u64_e32 vcc, s[22:23], v[6:7]
	s_addc_u32 s21, s21, 0
	s_cbranch_vccnz .LBB0_9
; %bb.7:                                ;   in Loop: Header=BB0_2 Depth=1
	v_mov_b64_e32 v[6:7], v[14:15]
	s_branch .LBB0_2
.LBB0_8:
	v_mov_b64_e32 v[12:13], v[2:3]
	v_mov_b64_e32 v[14:15], v[6:7]
.LBB0_9:
	s_load_dwordx2 s[18:19], s[0:1], 0x28
	s_lshl_b64 s[16:17], s[10:11], 3
	s_add_u32 s2, s14, s16
	s_addc_u32 s3, s15, s17
                                        ; implicit-def: $vgpr16
                                        ; implicit-def: $vgpr18
                                        ; implicit-def: $vgpr22
                                        ; implicit-def: $vgpr20
	s_waitcnt lgkmcnt(0)
	v_cmp_gt_u64_e64 s[0:1], s[18:19], v[14:15]
	v_cmp_le_u64_e32 vcc, s[18:19], v[14:15]
	s_and_saveexec_b64 s[10:11], vcc
	s_xor_b64 s[10:11], exec, s[10:11]
; %bb.10:
	s_mov_b32 s14, 0x1f07c20
	v_mul_hi_u32 v1, v0, s14
	v_mul_u32_u24_e32 v1, 0x84, v1
	v_sub_u32_e32 v16, v0, v1
	v_add_u32_e32 v18, 0x84, v16
	v_add_u32_e32 v22, 0x108, v16
	;; [unrolled: 1-line block ×3, first 2 shown]
                                        ; implicit-def: $vgpr0
                                        ; implicit-def: $vgpr2_vgpr3
; %bb.11:
	s_andn2_saveexec_b64 s[10:11], s[10:11]
	s_cbranch_execz .LBB0_13
; %bb.12:
	s_add_u32 s12, s12, s16
	s_addc_u32 s13, s13, s17
	s_load_dwordx2 s[12:13], s[12:13], 0x0
	s_mov_b32 s14, 0x1f07c20
	s_waitcnt lgkmcnt(0)
	v_mul_lo_u32 v1, s13, v14
	v_mul_lo_u32 v6, s12, v15
	v_mad_u64_u32 v[4:5], s[12:13], s12, v14, 0
	v_add3_u32 v5, v5, v6, v1
	v_mul_hi_u32 v1, v0, s14
	v_mul_u32_u24_e32 v1, 0x84, v1
	v_sub_u32_e32 v16, v0, v1
	v_lshl_add_u64 v[0:1], v[4:5], 3, s[4:5]
	v_lshl_add_u64 v[0:1], v[2:3], 3, v[0:1]
	v_lshlrev_b32_e32 v2, 3, v16
	v_mov_b32_e32 v3, 0
	v_lshl_add_u64 v[0:1], v[0:1], 0, v[2:3]
	s_movk_i32 s4, 0x1000
	v_add_co_u32_e32 v18, vcc, s4, v0
	global_load_dwordx2 v[4:5], v[0:1], off
	global_load_dwordx2 v[6:7], v[0:1], off offset:1056
	global_load_dwordx2 v[8:9], v[0:1], off offset:2112
	;; [unrolled: 1-line block ×3, first 2 shown]
	v_addc_co_u32_e32 v19, vcc, 0, v1, vcc
	v_add_co_u32_e32 v0, vcc, 0x2000, v0
	global_load_dwordx2 v[24:25], v[18:19], off offset:128
	global_load_dwordx2 v[26:27], v[18:19], off offset:1184
	;; [unrolled: 1-line block ×4, first 2 shown]
	v_addc_co_u32_e32 v1, vcc, 0, v1, vcc
	global_load_dwordx2 v[32:33], v[0:1], off offset:256
	global_load_dwordx2 v[34:35], v[0:1], off offset:1312
	;; [unrolled: 1-line block ×3, first 2 shown]
	v_add_u32_e32 v18, 0x84, v16
	v_add_u32_e32 v22, 0x108, v16
	;; [unrolled: 1-line block ×8, first 2 shown]
	s_waitcnt vmcnt(9)
	ds_write2_b64 v0, v[4:5], v[6:7] offset1:132
	s_waitcnt vmcnt(7)
	ds_write2_b64 v1, v[8:9], v[10:11] offset0:8 offset1:140
	s_waitcnt vmcnt(5)
	ds_write2_b64 v2, v[24:25], v[26:27] offset0:16 offset1:148
	;; [unrolled: 2-line block ×4, first 2 shown]
	s_waitcnt vmcnt(0)
	ds_write_b64 v0, v[36:37] offset:10560
.LBB0_13:
	s_or_b64 exec, exec, s[10:11]
	v_lshl_add_u32 v54, v16, 3, 0
	s_load_dwordx2 s[2:3], s[2:3], 0x0
	s_waitcnt lgkmcnt(0)
	s_barrier
	ds_read2_b64 v[0:3], v54 offset1:132
	ds_read_b64 v[40:41], v54 offset:10560
	v_add_u32_e32 v17, 0x2000, v54
	ds_read2_b64 v[36:39], v17 offset0:32 offset1:164
	s_mov_b32 s4, 0x3f575c64
	s_waitcnt lgkmcnt(2)
	v_mov_b32_e32 v27, v3
	s_waitcnt lgkmcnt(1)
	v_pk_add_f32 v[4:5], v[2:3], v[40:41]
	v_mov_b32_e32 v25, v41
	v_add_u32_e32 v5, 0x800, v54
	ds_read2_b64 v[32:35], v5 offset0:8 offset1:140
	s_waitcnt lgkmcnt(1)
	v_mov_b32_e32 v24, v39
	v_pk_add_f32 v[42:43], v[2:3], v[40:41] neg_lo:[0,1] neg_hi:[0,1]
	s_mov_b32 s5, 0xbf0a6770
	s_mov_b32 s10, 0xbf7d64f0
	s_waitcnt lgkmcnt(0)
	v_pk_add_f32 v[10:11], v[34:35], v[36:37]
	v_mov_b32_e32 v26, v33
	v_add_u32_e32 v10, 0x1000, v54
	ds_read2_b64 v[56:59], v10 offset0:16 offset1:148
	v_add_u32_e32 v10, 0x1800, v54
	ds_read2_b64 v[60:63], v10 offset0:24 offset1:156
	v_pk_add_f32 v[44:45], v[24:25], v[26:27]
	v_mov_b32_e32 v25, v2
	v_pk_add_f32 v[2:3], v[0:1], v[2:3]
	v_pk_add_f32 v[6:7], v[34:35], v[36:37] neg_lo:[0,1] neg_hi:[0,1]
	v_pk_add_f32 v[2:3], v[2:3], v[32:33]
	v_mov_b32_e32 v24, v32
	v_pk_add_f32 v[2:3], v[2:3], v[34:35]
	v_mov_b32_e32 v26, v38
	s_waitcnt lgkmcnt(1)
	v_pk_add_f32 v[2:3], v[2:3], v[56:57]
	v_mov_b32_e32 v27, v40
	v_pk_add_f32 v[2:3], v[2:3], v[58:59]
	v_mov_b32_e32 v7, v11
	s_waitcnt lgkmcnt(0)
	v_pk_add_f32 v[2:3], v[2:3], v[60:61]
	s_mov_b32 s11, 0xbe11bafb
	v_pk_add_f32 v[2:3], v[2:3], v[62:63]
	v_pk_add_f32 v[48:49], v[24:25], v[26:27] neg_lo:[0,1] neg_hi:[0,1]
	s_mov_b32 s18, 0xbf68dda4
	s_mov_b32 s19, s5
	v_pk_add_f32 v[2:3], v[2:3], v[36:37]
	v_pk_mul_f32 v[8:9], v[6:7], s[10:11]
	v_mov_b32_e32 v27, v32
	v_pk_add_f32 v[24:25], v[58:59], v[60:61] neg_lo:[0,1] neg_hi:[0,1]
	v_pk_add_f32 v[30:31], v[58:59], v[60:61]
	v_mov_b32_e32 v32, v58
	v_mov_b32_e32 v52, v60
	;; [unrolled: 1-line block ×4, first 2 shown]
	v_pk_add_f32 v[36:37], v[2:3], v[38:39]
	v_pk_mul_f32 v[2:3], v[48:49], s[18:19]
	v_mov_b32_e32 v26, v34
	v_mov_b32_e32 v46, v35
	v_mov_b32_e32 v47, v33
	v_pk_add_f32 v[28:29], v[56:57], v[62:63]
	v_pk_add_f32 v[50:51], v[56:57], v[62:63] neg_lo:[0,1] neg_hi:[0,1]
	v_mov_b32_e32 v33, v56
	v_mov_b32_e32 v34, v59
	;; [unrolled: 1-line block ×7, first 2 shown]
	v_pk_mul_f32 v[2:3], v[42:43], s[4:5]
	v_mov_b32_e32 v5, v43
	v_mov_b32_e32 v10, v3
	s_mov_b32 s12, 0x3ed4b147
	v_pk_add_f32 v[60:61], v[46:47], v[60:61] neg_lo:[0,1] neg_hi:[0,1]
	s_mov_b32 s14, s10
	s_mov_b32 s15, s18
	v_mov_b32_e32 v35, v57
	v_mov_b32_e32 v53, v62
	;; [unrolled: 1-line block ×3, first 2 shown]
	v_pk_add_f32 v[2:3], v[58:59], v[26:27]
	v_pk_fma_f32 v[26:27], v[4:5], s[4:5], v[10:11]
	s_mov_b32 s20, s11
	s_mov_b32 s21, s12
	v_pk_mul_f32 v[62:63], v[60:61], s[14:15]
	v_pk_add_f32 v[58:59], v[0:1], v[26:27]
	s_mov_b32 s13, s4
	v_pk_add_f32 v[26:27], v[52:53], v[32:33]
	v_pk_fma_f32 v[32:33], v[2:3], s[20:21], v[62:63]
	s_mov_b32 s14, 0xbf27a4f4
	v_pk_mul_f32 v[46:47], v[44:45], s[12:13]
	v_mov_b32_e32 v28, v33
	s_mov_b32 s15, 0xbf4178ce
	s_mov_b32 s16, 0xbe903f40
	v_pk_add_f32 v[56:57], v[34:35], v[56:57] neg_lo:[0,1] neg_hi:[0,1]
	v_pk_add_f32 v[34:35], v[36:37], v[40:41]
	v_pk_add_f32 v[36:37], v[28:29], v[58:59]
	v_pk_fma_f32 v[40:41], v[48:49], s[18:19], v[46:47] neg_lo:[1,0,0] neg_hi:[1,0,0]
	v_mov_b32_e32 v39, v46
	s_mov_b32 s17, 0xbf75a155
	s_mov_b32 s24, s16
	;; [unrolled: 1-line block ×3, first 2 shown]
	v_pk_add_f32 v[38:39], v[38:39], v[8:9] neg_lo:[0,1] neg_hi:[0,1]
	s_mov_b32 s22, s17
	s_mov_b32 s23, s14
	v_pk_add_f32 v[32:33], v[32:33], v[36:37]
	v_pk_mul_f32 v[36:37], v[56:57], s[24:25]
	v_pk_add_f32 v[40:41], v[0:1], v[40:41]
	v_mov_b32_e32 v9, v38
	v_pk_add_f32 v[40:41], v[38:39], v[40:41]
	v_pk_fma_f32 v[38:39], v[26:27], s[22:23], v[36:37]
	v_mov_b32_e32 v25, v31
	v_mov_b32_e32 v28, v39
	v_pk_add_f32 v[58:59], v[32:33], v[28:29]
	v_mov_b32_e32 v32, v39
	v_pk_mul_f32 v[38:39], v[24:25], s[16:17]
	v_pk_add_f32 v[52:53], v[8:9], v[40:41]
	v_mov_b32_e32 v33, v38
	v_pk_fma_f32 v[32:33], v[24:25], s[16:17], v[32:33] neg_lo:[0,0,1] neg_hi:[0,0,1]
	v_mov_b32_e32 v40, v29
	v_mov_b32_e32 v41, v50
	;; [unrolled: 1-line block ×3, first 2 shown]
	v_pk_mul_f32 v[32:33], v[40:41], s[14:15]
	v_pk_mul_f32 v[64:65], v[26:27], s[22:23]
	v_mov_b32_e32 v9, v32
	v_pk_fma_f32 v[32:33], v[40:41], s[14:15], v[8:9] neg_lo:[1,0,0] neg_hi:[1,0,0]
	s_movk_i32 s13, 0x50
	v_mov_b32_e32 v65, v33
	v_pk_fma_f32 v[32:33], v[26:27], s[22:23], v[36:37] neg_lo:[0,0,1] neg_hi:[0,0,1]
	v_mov_b32_e32 v37, v53
	v_pk_add_f32 v[36:37], v[64:65], v[36:37]
	v_mad_u32_u24 v19, v16, s13, v54
	v_pk_add_f32 v[36:37], v[36:37], v[58:59]
	s_barrier
	ds_write2_b64 v19, v[34:35], v[36:37] offset1:1
	v_pk_fma_f32 v[36:37], v[4:5], s[4:5], v[10:11] neg_lo:[0,0,1] neg_hi:[0,0,1]
	v_mov_b32_e32 v5, v49
	s_mov_b32 s13, s18
	v_pk_fma_f32 v[34:35], v[48:49], s[18:19], v[46:47]
	s_mov_b32 s19, s12
	v_mov_b32_e32 v10, v43
	v_pk_mul_f32 v[52:53], v[4:5], s[12:13]
	v_mov_b32_e32 v58, v43
	v_mov_b32_e32 v59, v45
	;; [unrolled: 1-line block ×4, first 2 shown]
	v_pk_fma_f32 v[46:47], v[10:11], s[18:19], v[52:53] neg_lo:[1,0,0] neg_hi:[1,0,0]
	v_pk_fma_f32 v[42:43], v[58:59], s[18:19], v[52:53]
	v_pk_fma_f32 v[52:53], v[58:59], s[18:19], v[52:53] neg_lo:[0,0,1] neg_hi:[0,0,1]
	s_mov_b32 s24, s15
	s_mov_b32 s25, s14
	v_mov_b32_e32 v10, v61
	v_pk_mul_f32 v[64:65], v[48:49], s[14:15]
	v_mov_b32_e32 v45, v44
	v_mov_b32_e32 v44, v61
	;; [unrolled: 1-line block ×4, first 2 shown]
	v_pk_fma_f32 v[52:53], v[10:11], s[24:25], v[64:65] neg_lo:[1,0,0] neg_hi:[1,0,0]
	v_pk_fma_f32 v[66:67], v[44:45], s[24:25], v[64:65]
	v_pk_fma_f32 v[64:65], v[44:45], s[24:25], v[64:65] neg_lo:[0,0,1] neg_hi:[0,0,1]
	v_mov_b32_e32 v53, v67
	v_mov_b32_e32 v67, v65
	v_pk_add_f32 v[42:43], v[0:1], v[42:43]
	s_mov_b32 s30, 0x3e903f40
	v_pk_add_f32 v[64:65], v[66:67], v[42:43]
	v_pk_fma_f32 v[42:43], v[2:3], s[20:21], v[62:63] neg_lo:[0,0,1] neg_hi:[0,0,1]
	v_mov_b32_e32 v3, v6
	s_mov_b32 s18, s17
	s_mov_b32 s19, s30
	v_mov_b32_e32 v10, v60
	s_mov_b32 s31, s17
	v_pk_mul_f32 v[62:63], v[2:3], s[18:19]
	s_mov_b32 s34, 0x3f7d64f0
	v_pk_fma_f32 v[60:61], v[60:61], s[30:31], v[62:63] neg_lo:[1,0,0] neg_hi:[1,0,0]
	v_pk_fma_f32 v[66:67], v[10:11], s[30:31], v[62:63]
	v_pk_fma_f32 v[62:63], v[10:11], s[30:31], v[62:63] neg_lo:[0,0,1] neg_hi:[0,0,1]
	v_mov_b32_e32 v61, v67
	v_mov_b32_e32 v67, v63
	;; [unrolled: 1-line block ×4, first 2 shown]
	s_mov_b32 s22, s11
	s_mov_b32 s23, s34
	v_pk_add_f32 v[62:63], v[66:67], v[64:65]
	v_mov_b32_e32 v28, v57
	s_mov_b32 s35, s11
	v_mov_b32_e32 v30, v57
	v_pk_mul_f32 v[64:65], v[50:51], s[22:23]
	s_mov_b32 s28, 0x3f0a6770
	v_pk_fma_f32 v[66:67], v[30:31], s[34:35], v[64:65] neg_lo:[1,0,0] neg_hi:[1,0,0]
	v_pk_fma_f32 v[68:69], v[28:29], s[34:35], v[64:65]
	v_pk_fma_f32 v[64:65], v[28:29], s[34:35], v[64:65] neg_lo:[0,0,1] neg_hi:[0,0,1]
	v_mov_b32_e32 v27, v24
	s_mov_b32 s26, s4
	s_mov_b32 s27, s28
	v_mov_b32_e32 v67, v69
	v_mov_b32_e32 v69, v65
	;; [unrolled: 1-line block ×3, first 2 shown]
	s_mov_b32 s29, s4
	v_pk_mul_f32 v[64:65], v[26:27], s[26:27]
	v_pk_add_f32 v[62:63], v[68:69], v[62:63]
	v_pk_fma_f32 v[56:57], v[56:57], s[28:29], v[64:65] neg_lo:[1,0,0] neg_hi:[1,0,0]
	v_pk_fma_f32 v[68:69], v[30:31], s[28:29], v[64:65]
	v_pk_fma_f32 v[64:65], v[30:31], s[28:29], v[64:65] neg_lo:[0,0,1] neg_hi:[0,0,1]
	v_mov_b32_e32 v57, v69
	v_mov_b32_e32 v69, v65
	s_mov_b32 s21, s10
	v_pk_mul_f32 v[64:65], v[58:59], s[10:11]
	v_pk_add_f32 v[62:63], v[68:69], v[62:63]
	v_pk_fma_f32 v[68:69], v[4:5], s[20:21], v[64:65]
	v_pk_fma_f32 v[70:71], v[4:5], s[20:21], v[64:65] neg_lo:[1,0,0] neg_hi:[1,0,0]
	v_pk_mul_f32 v[72:73], v[44:45], s[30:31]
	v_mov_b32_e32 v70, v68
	v_pk_fma_f32 v[74:75], v[48:49], s[18:19], v[72:73]
	v_pk_fma_f32 v[76:77], v[48:49], s[18:19], v[72:73] neg_lo:[1,0,0] neg_hi:[1,0,0]
	s_mov_b32 s13, 0x3f68dda4
	v_mov_b32_e32 v76, v74
	v_pk_add_f32 v[70:71], v[0:1], v[70:71]
	s_mov_b32 s30, s13
	s_mov_b32 s31, s12
	v_pk_add_f32 v[70:71], v[76:77], v[70:71]
	v_pk_mul_f32 v[76:77], v[10:11], s[30:31]
	s_mov_b32 s36, s5
	v_pk_fma_f32 v[78:79], v[2:3], s[12:13], v[76:77]
	v_pk_fma_f32 v[80:81], v[2:3], s[12:13], v[76:77] neg_lo:[1,0,0] neg_hi:[1,0,0]
	s_mov_b32 s37, s4
	v_mov_b32_e32 v80, v78
	v_pk_add_f32 v[70:71], v[80:81], v[70:71]
	v_pk_mul_f32 v[80:81], v[28:29], s[36:37]
	v_pk_mul_f32 v[90:91], v[44:45], s[34:35]
	v_pk_fma_f32 v[82:83], v[50:51], s[4:5], v[80:81]
	v_pk_fma_f32 v[84:85], v[50:51], s[4:5], v[80:81] neg_lo:[1,0,0] neg_hi:[1,0,0]
	v_pk_fma_f32 v[92:93], v[48:49], s[22:23], v[90:91]
	v_mov_b32_e32 v84, v82
	v_pk_add_f32 v[70:71], v[84:85], v[70:71]
	v_pk_mul_f32 v[84:85], v[30:31], s[24:25]
	v_pk_fma_f32 v[94:95], v[48:49], s[22:23], v[90:91] neg_lo:[1,0,0] neg_hi:[1,0,0]
	v_pk_fma_f32 v[86:87], v[26:27], s[14:15], v[84:85]
	v_pk_fma_f32 v[88:89], v[26:27], s[14:15], v[84:85] neg_lo:[1,0,0] neg_hi:[1,0,0]
	v_mov_b32_e32 v94, v92
	v_mov_b32_e32 v88, v86
	v_pk_add_f32 v[70:71], v[88:89], v[70:71]
	ds_write2_b64 v19, v[62:63], v[70:71] offset0:2 offset1:3
	v_pk_mul_f32 v[62:63], v[58:59], s[24:25]
	s_mov_b32 s34, s17
	v_pk_fma_f32 v[70:71], v[4:5], s[14:15], v[62:63]
	v_pk_fma_f32 v[88:89], v[4:5], s[14:15], v[62:63] neg_lo:[1,0,0] neg_hi:[1,0,0]
	s_mov_b32 s35, s16
	v_mov_b32_e32 v88, v70
	v_pk_add_f32 v[88:89], v[0:1], v[88:89]
	v_pk_mul_f32 v[58:59], v[58:59], s[16:17]
	v_pk_add_f32 v[88:89], v[94:95], v[88:89]
	v_pk_mul_f32 v[94:95], v[10:11], s[36:37]
	v_pk_fma_f32 v[108:109], v[4:5], s[34:35], v[58:59] neg_lo:[1,0,0] neg_hi:[1,0,0]
	v_pk_fma_f32 v[96:97], v[2:3], s[4:5], v[94:95]
	v_pk_fma_f32 v[98:99], v[2:3], s[4:5], v[94:95] neg_lo:[1,0,0] neg_hi:[1,0,0]
	v_pk_mul_f32 v[44:45], v[44:45], s[28:29]
	v_mov_b32_e32 v98, v96
	v_pk_add_f32 v[88:89], v[98:99], v[88:89]
	v_pk_mul_f32 v[98:99], v[28:29], s[16:17]
	v_pk_fma_f32 v[110:111], v[48:49], s[26:27], v[44:45]
	v_pk_fma_f32 v[100:101], v[50:51], s[34:35], v[98:99]
	v_pk_fma_f32 v[102:103], v[50:51], s[34:35], v[98:99] neg_lo:[1,0,0] neg_hi:[1,0,0]
	v_pk_fma_f32 v[112:113], v[48:49], s[26:27], v[44:45] neg_lo:[1,0,0] neg_hi:[1,0,0]
	v_mov_b32_e32 v102, v100
	v_pk_add_f32 v[88:89], v[102:103], v[88:89]
	v_pk_mul_f32 v[102:103], v[30:31], s[30:31]
	v_mov_b32_e32 v112, v110
	v_pk_fma_f32 v[104:105], v[26:27], s[12:13], v[102:103]
	v_pk_fma_f32 v[106:107], v[26:27], s[12:13], v[102:103] neg_lo:[1,0,0] neg_hi:[1,0,0]
	v_pk_mul_f32 v[10:11], v[10:11], s[24:25]
	v_mov_b32_e32 v106, v104
	v_pk_add_f32 v[88:89], v[106:107], v[88:89]
	v_pk_fma_f32 v[106:107], v[4:5], s[34:35], v[58:59]
	v_pk_fma_f32 v[58:59], v[4:5], s[34:35], v[58:59] neg_lo:[0,0,1] neg_hi:[0,0,1]
	v_mov_b32_e32 v108, v106
	v_pk_add_f32 v[108:109], v[0:1], v[108:109]
	v_pk_fma_f32 v[114:115], v[2:3], s[14:15], v[10:11] neg_lo:[1,0,0] neg_hi:[1,0,0]
	v_pk_add_f32 v[108:109], v[112:113], v[108:109]
	v_pk_fma_f32 v[112:113], v[2:3], s[14:15], v[10:11]
	v_mov_b32_e32 v59, v107
	v_pk_fma_f32 v[44:45], v[48:49], s[26:27], v[44:45] neg_lo:[0,0,1] neg_hi:[0,0,1]
	v_mov_b32_e32 v114, v112
	v_pk_mul_f32 v[28:29], v[28:29], s[30:31]
	v_mov_b32_e32 v45, v111
	v_pk_fma_f32 v[10:11], v[2:3], s[14:15], v[10:11] neg_lo:[0,0,1] neg_hi:[0,0,1]
	v_pk_add_f32 v[58:59], v[0:1], v[58:59]
	v_pk_add_f32 v[108:109], v[114:115], v[108:109]
	v_pk_fma_f32 v[114:115], v[50:51], s[12:13], v[28:29]
	v_pk_fma_f32 v[116:117], v[50:51], s[12:13], v[28:29] neg_lo:[1,0,0] neg_hi:[1,0,0]
	v_mov_b32_e32 v11, v113
	v_pk_fma_f32 v[28:29], v[50:51], s[12:13], v[28:29] neg_lo:[0,0,1] neg_hi:[0,0,1]
	v_pk_add_f32 v[44:45], v[44:45], v[58:59]
	v_mov_b32_e32 v116, v114
	v_pk_mul_f32 v[30:31], v[30:31], s[10:11]
	v_mov_b32_e32 v29, v115
	v_pk_add_f32 v[10:11], v[10:11], v[44:45]
	v_pk_add_f32 v[108:109], v[116:117], v[108:109]
	v_pk_fma_f32 v[116:117], v[26:27], s[20:21], v[30:31]
	v_pk_add_f32 v[10:11], v[28:29], v[10:11]
	v_pk_fma_f32 v[28:29], v[26:27], s[20:21], v[30:31] neg_lo:[0,0,1] neg_hi:[0,0,1]
	v_pk_fma_f32 v[118:119], v[26:27], s[20:21], v[30:31] neg_lo:[1,0,0] neg_hi:[1,0,0]
	v_mov_b32_e32 v29, v117
	v_pk_add_f32 v[10:11], v[28:29], v[10:11]
	v_pk_fma_f32 v[28:29], v[4:5], s[14:15], v[62:63] neg_lo:[0,0,1] neg_hi:[0,0,1]
	v_pk_fma_f32 v[30:31], v[48:49], s[22:23], v[90:91] neg_lo:[0,0,1] neg_hi:[0,0,1]
	v_mov_b32_e32 v29, v71
	v_mov_b32_e32 v31, v93
	v_pk_fma_f32 v[44:45], v[2:3], s[4:5], v[94:95] neg_lo:[0,0,1] neg_hi:[0,0,1]
	v_pk_add_f32 v[28:29], v[0:1], v[28:29]
	v_mov_b32_e32 v45, v97
	v_pk_fma_f32 v[58:59], v[50:51], s[34:35], v[98:99] neg_lo:[0,0,1] neg_hi:[0,0,1]
	v_pk_add_f32 v[28:29], v[30:31], v[28:29]
	v_mov_b32_e32 v59, v101
	v_pk_add_f32 v[28:29], v[44:45], v[28:29]
	v_pk_fma_f32 v[30:31], v[26:27], s[12:13], v[102:103] neg_lo:[0,0,1] neg_hi:[0,0,1]
	v_pk_add_f32 v[28:29], v[58:59], v[28:29]
	v_mov_b32_e32 v31, v105
	v_pk_add_f32 v[28:29], v[30:31], v[28:29]
	ds_write2_b64 v19, v[10:11], v[28:29] offset0:6 offset1:7
	v_mov_b32_e32 v11, v8
	v_pk_fma_f32 v[6:7], v[6:7], s[10:11], v[10:11]
	v_mov_b32_e32 v11, v38
	v_pk_fma_f32 v[10:11], v[24:25], s[16:17], v[10:11]
	v_pk_add_f32 v[24:25], v[0:1], v[46:47]
	v_pk_fma_f32 v[4:5], v[4:5], s[20:21], v[64:65] neg_lo:[0,0,1] neg_hi:[0,0,1]
	v_pk_add_f32 v[24:25], v[52:53], v[24:25]
	v_mov_b32_e32 v5, v69
	v_pk_add_f32 v[24:25], v[60:61], v[24:25]
	v_pk_fma_f32 v[2:3], v[2:3], s[12:13], v[76:77] neg_lo:[0,0,1] neg_hi:[0,0,1]
	v_pk_add_f32 v[24:25], v[66:67], v[24:25]
	v_pk_add_f32 v[4:5], v[0:1], v[4:5]
	;; [unrolled: 1-line block ×3, first 2 shown]
	v_pk_fma_f32 v[24:25], v[48:49], s[18:19], v[72:73] neg_lo:[0,0,1] neg_hi:[0,0,1]
	v_mov_b32_e32 v3, v79
	v_mov_b32_e32 v25, v75
	v_pk_fma_f32 v[30:31], v[50:51], s[4:5], v[80:81] neg_lo:[0,0,1] neg_hi:[0,0,1]
	v_pk_add_f32 v[4:5], v[24:25], v[4:5]
	v_mov_b32_e32 v31, v83
	v_pk_add_f32 v[2:3], v[2:3], v[4:5]
	v_pk_fma_f32 v[4:5], v[26:27], s[14:15], v[84:85] neg_lo:[0,0,1] neg_hi:[0,0,1]
	v_pk_add_f32 v[2:3], v[30:31], v[2:3]
	v_mov_b32_e32 v5, v87
	v_pk_add_f32 v[2:3], v[4:5], v[2:3]
	v_mov_b32_e32 v37, v35
	ds_write2_b64 v19, v[2:3], v[28:29] offset0:8 offset1:9
	v_pk_add_f32 v[0:1], v[0:1], v[36:37]
	v_mov_b32_e32 v2, v43
	v_mov_b32_e32 v3, v34
	v_pk_fma_f32 v[8:9], v[40:41], s[14:15], v[8:9]
	v_pk_add_f32 v[0:1], v[2:3], v[0:1]
	v_mov_b32_e32 v43, v7
	v_pk_add_f32 v[0:1], v[42:43], v[0:1]
	v_mov_b32_e32 v8, v33
	v_mov_b32_e32 v118, v116
	v_pk_add_f32 v[0:1], v[8:9], v[0:1]
	v_mov_b32_e32 v33, v11
	v_pk_add_f32 v[108:109], v[118:119], v[108:109]
	v_pk_add_f32 v[24:25], v[32:33], v[0:1]
	v_add_u32_e32 v0, 0xc00, v54
	v_add_u32_e32 v4, 0x1700, v54
	ds_write2_b64 v19, v[88:89], v[108:109] offset0:4 offset1:5
	ds_write_b64 v19, v[24:25] offset:80
	s_waitcnt lgkmcnt(0)
	s_barrier
	ds_read2_b64 v[0:3], v0 offset0:100 offset1:232
	ds_read2_b64 v[4:7], v4 offset0:12 offset1:232
	v_lshl_add_u32 v42, v18, 3, 0
	ds_read2_b64 v[8:11], v17 offset0:76 offset1:208
	v_lshl_add_u32 v41, v22, 3, 0
	ds_read_b64 v[34:35], v54
	ds_read_b64 v[32:33], v42
	;; [unrolled: 1-line block ×3, first 2 shown]
	s_movk_i32 s4, 0x58
	v_cmp_gt_u32_e32 vcc, s4, v16
	v_lshl_add_u32 v40, v20, 3, 0
                                        ; implicit-def: $vgpr26
                                        ; implicit-def: $vgpr36
	s_and_saveexec_b64 s[4:5], vcc
	s_cbranch_execz .LBB0_15
; %bb.14:
	ds_read_b64 v[28:29], v40
	ds_read_b64 v[26:27], v54 offset:10912
	ds_read_b64 v[24:25], v54 offset:7040
	s_waitcnt lgkmcnt(1)
	v_mov_b32_e32 v36, v27
.LBB0_15:
	s_or_b64 exec, exec, s[4:5]
	s_mov_b32 s4, 0xba2f
	v_mul_u32_u24_sdwa v17, v18, s4 dst_sel:DWORD dst_unused:UNUSED_PAD src0_sel:WORD_0 src1_sel:DWORD
	v_lshrrev_b32_e32 v23, 19, v17
	v_mul_lo_u16_e32 v17, 11, v23
	v_sub_u16_e32 v27, v18, v17
	v_mul_u32_u24_sdwa v17, v22, s4 dst_sel:DWORD dst_unused:UNUSED_PAD src0_sel:WORD_0 src1_sel:DWORD
	v_lshrrev_b32_e32 v37, 19, v17
	v_mul_lo_u16_e32 v17, 11, v37
	v_sub_u16_e32 v39, v22, v17
	v_mul_u32_u24_sdwa v17, v20, s4 dst_sel:DWORD dst_unused:UNUSED_PAD src0_sel:WORD_0 src1_sel:DWORD
	s_movk_i32 s4, 0x75
	v_lshrrev_b32_e32 v17, 19, v17
	v_mul_lo_u16_sdwa v38, v16, s4 dst_sel:DWORD dst_unused:UNUSED_PAD src0_sel:BYTE_0 src1_sel:DWORD
	v_mul_lo_u16_e32 v19, 11, v17
	v_sub_u16_sdwa v43, v16, v38 dst_sel:DWORD dst_unused:UNUSED_PAD src0_sel:DWORD src1_sel:BYTE_1
	v_sub_u16_e32 v19, v20, v19
	v_lshrrev_b16_e32 v43, 1, v43
	v_lshlrev_b32_e32 v21, 4, v19
	v_and_b32_e32 v43, 0x7f, v43
	global_load_dwordx4 v[44:47], v21, s[8:9]
	v_lshlrev_b32_e32 v21, 4, v39
	v_add_u16_sdwa v38, v43, v38 dst_sel:DWORD dst_unused:UNUSED_PAD src0_sel:DWORD src1_sel:BYTE_1
	global_load_dwordx4 v[48:51], v21, s[8:9]
	v_lshlrev_b32_e32 v21, 4, v27
	v_lshrrev_b16_e32 v43, 3, v38
	global_load_dwordx4 v[56:59], v21, s[8:9]
	v_mul_lo_u16_e32 v38, 11, v43
	v_mov_b32_e32 v21, 4
	v_sub_u16_e32 v52, v16, v38
	v_lshlrev_b32_sdwa v21, v21, v52 dst_sel:DWORD dst_unused:UNUSED_PAD src0_sel:DWORD src1_sel:BYTE_0
	global_load_dwordx4 v[60:63], v21, s[8:9]
	s_waitcnt lgkmcnt(0)
	v_mov_b32_e32 v38, v25
	v_mov_b32_e32 v21, 3
	v_mul_u32_u24_e32 v23, 0x108, v23
	v_mul_u32_u24_e32 v25, 0x108, v37
	v_lshlrev_b32_e32 v27, 3, v27
	v_lshlrev_b32_e32 v37, 3, v39
	v_add3_u32 v23, 0, v23, v27
	v_add3_u32 v55, 0, v25, v37
	v_mul_u32_u24_e32 v25, 0x108, v43
	v_lshlrev_b32_sdwa v27, v21, v52 dst_sel:DWORD dst_unused:UNUSED_PAD src0_sel:DWORD src1_sel:BYTE_0
	v_add3_u32 v43, 0, v25, v27
	s_mov_b32 s4, 0x3f5db3d7
	s_barrier
	s_waitcnt vmcnt(3)
	v_pk_mul_f32 v[38:39], v[38:39], v[44:45] op_sel_hi:[0,1]
	v_pk_mul_f32 v[52:53], v[36:37], v[46:47] op_sel_hi:[0,1]
	v_pk_fma_f32 v[36:37], v[24:25], v[44:45], v[38:39] op_sel:[0,0,1] op_sel_hi:[1,1,0]
	s_waitcnt vmcnt(2)
	v_pk_mul_f32 v[64:65], v[48:49], v[4:5] op_sel:[0,1]
	v_pk_fma_f32 v[24:25], v[24:25], v[44:45], v[38:39] op_sel:[0,0,1] op_sel_hi:[0,1,0] neg_lo:[1,0,0] neg_hi:[1,0,0]
	v_pk_fma_f32 v[38:39], v[26:27], v[46:47], v[52:53] op_sel:[0,0,1] op_sel_hi:[1,1,0]
	s_waitcnt vmcnt(1)
	v_pk_mul_f32 v[68:69], v[56:57], v[2:3] op_sel:[0,1]
	v_pk_fma_f32 v[26:27], v[26:27], v[46:47], v[52:53] op_sel:[0,0,1] op_sel_hi:[0,1,0] neg_lo:[1,0,0] neg_hi:[1,0,0]
	v_pk_fma_f32 v[44:45], v[48:49], v[4:5], v[64:65] op_sel:[0,0,1] op_sel_hi:[1,1,0]
	v_pk_fma_f32 v[4:5], v[48:49], v[4:5], v[64:65] op_sel:[0,0,1] op_sel_hi:[1,0,0] neg_lo:[1,0,0] neg_hi:[1,0,0]
	v_pk_fma_f32 v[48:49], v[56:57], v[2:3], v[68:69] op_sel:[0,0,1] op_sel_hi:[1,1,0]
	v_pk_fma_f32 v[2:3], v[56:57], v[2:3], v[68:69] op_sel:[0,0,1] op_sel_hi:[1,0,0] neg_lo:[1,0,0] neg_hi:[1,0,0]
	v_mov_b32_e32 v37, v25
	v_mov_b32_e32 v39, v27
	;; [unrolled: 1-line block ×4, first 2 shown]
	v_pk_add_f32 v[2:3], v[36:37], v[38:39]
	v_pk_add_f32 v[4:5], v[36:37], v[38:39] neg_lo:[0,1] neg_hi:[0,1]
	v_pk_fma_f32 v[2:3], v[2:3], 0.5, v[28:29] op_sel_hi:[1,0,1] neg_lo:[1,0,0] neg_hi:[1,0,0]
	v_pk_mul_f32 v[4:5], v[4:5], s[4:5] op_sel_hi:[1,0]
	s_waitcnt vmcnt(0)
	v_pk_mul_f32 v[52:53], v[60:61], v[0:1] op_sel:[0,1]
	v_pk_mul_f32 v[56:57], v[62:63], v[6:7] op_sel:[0,1]
	v_pk_add_f32 v[24:25], v[2:3], v[4:5] op_sel:[0,1] op_sel_hi:[1,0]
	v_pk_add_f32 v[26:27], v[2:3], v[4:5] op_sel:[0,1] op_sel_hi:[1,0] neg_lo:[0,1] neg_hi:[0,1]
	v_pk_fma_f32 v[2:3], v[60:61], v[0:1], v[52:53] op_sel:[0,0,1] op_sel_hi:[1,1,0]
	v_pk_fma_f32 v[0:1], v[60:61], v[0:1], v[52:53] op_sel:[0,0,1] op_sel_hi:[1,0,0] neg_lo:[1,0,0] neg_hi:[1,0,0]
	v_pk_fma_f32 v[4:5], v[62:63], v[6:7], v[56:57] op_sel:[0,0,1] op_sel_hi:[1,1,0]
	v_pk_fma_f32 v[6:7], v[62:63], v[6:7], v[56:57] op_sel:[0,0,1] op_sel_hi:[1,0,0] neg_lo:[1,0,0] neg_hi:[1,0,0]
	v_mov_b32_e32 v3, v1
	v_mov_b32_e32 v5, v7
	v_pk_add_f32 v[0:1], v[34:35], v[2:3]
	v_pk_add_f32 v[6:7], v[2:3], v[4:5]
	v_pk_add_f32 v[2:3], v[2:3], v[4:5] neg_lo:[0,1] neg_hi:[0,1]
	v_pk_mul_f32 v[66:67], v[50:51], v[10:11] op_sel:[0,1]
	v_pk_mul_f32 v[70:71], v[58:59], v[8:9] op_sel:[0,1]
	v_pk_add_f32 v[0:1], v[0:1], v[4:5]
	v_pk_fma_f32 v[4:5], v[6:7], 0.5, v[34:35] op_sel_hi:[1,0,1] neg_lo:[1,0,0] neg_hi:[1,0,0]
	v_pk_mul_f32 v[2:3], v[2:3], s[4:5] op_sel_hi:[1,0]
	v_pk_fma_f32 v[46:47], v[50:51], v[10:11], v[66:67] op_sel:[0,0,1] op_sel_hi:[1,1,0]
	v_pk_fma_f32 v[10:11], v[50:51], v[10:11], v[66:67] op_sel:[0,0,1] op_sel_hi:[1,0,0] neg_lo:[1,0,0] neg_hi:[1,0,0]
	v_pk_fma_f32 v[50:51], v[58:59], v[8:9], v[70:71] op_sel:[0,0,1] op_sel_hi:[1,1,0]
	v_pk_fma_f32 v[8:9], v[58:59], v[8:9], v[70:71] op_sel:[0,0,1] op_sel_hi:[1,0,0] neg_lo:[1,0,0] neg_hi:[1,0,0]
	v_pk_add_f32 v[6:7], v[4:5], v[2:3] op_sel:[0,1] op_sel_hi:[1,0] neg_lo:[0,1] neg_hi:[0,1]
	v_pk_add_f32 v[2:3], v[4:5], v[2:3] op_sel:[0,1] op_sel_hi:[1,0]
	v_mov_b32_e32 v51, v9
	v_mov_b32_e32 v4, v6
	;; [unrolled: 1-line block ×4, first 2 shown]
	ds_write2_b64 v43, v[0:1], v[4:5] offset1:11
	ds_write_b64 v43, v[2:3] offset:176
	v_pk_add_f32 v[0:1], v[48:49], v[50:51]
	v_pk_add_f32 v[2:3], v[48:49], v[50:51] neg_lo:[0,1] neg_hi:[0,1]
	v_pk_fma_f32 v[0:1], v[0:1], 0.5, v[32:33] op_sel_hi:[1,0,1] neg_lo:[1,0,0] neg_hi:[1,0,0]
	v_pk_mul_f32 v[2:3], v[2:3], s[4:5] op_sel_hi:[1,0]
	v_mov_b32_e32 v47, v11
	v_pk_add_f32 v[10:11], v[32:33], v[48:49]
	v_pk_add_f32 v[4:5], v[0:1], v[2:3] op_sel:[0,1] op_sel_hi:[1,0] neg_lo:[0,1] neg_hi:[0,1]
	v_pk_add_f32 v[0:1], v[0:1], v[2:3] op_sel:[0,1] op_sel_hi:[1,0]
	v_pk_add_f32 v[10:11], v[10:11], v[50:51]
	v_mov_b32_e32 v2, v4
	v_mov_b32_e32 v3, v1
	v_mov_b32_e32 v1, v5
	ds_write2_b64 v23, v[10:11], v[2:3] offset1:11
	ds_write_b64 v23, v[0:1] offset:176
	v_pk_add_f32 v[0:1], v[44:45], v[46:47]
	v_pk_add_f32 v[2:3], v[44:45], v[46:47] neg_lo:[0,1] neg_hi:[0,1]
	v_pk_fma_f32 v[0:1], v[0:1], 0.5, v[30:31] op_sel_hi:[1,0,1] neg_lo:[1,0,0] neg_hi:[1,0,0]
	v_pk_mul_f32 v[2:3], v[2:3], s[4:5] op_sel_hi:[1,0]
	v_pk_add_f32 v[8:9], v[30:31], v[44:45]
	v_pk_add_f32 v[4:5], v[0:1], v[2:3] op_sel:[0,1] op_sel_hi:[1,0] neg_lo:[0,1] neg_hi:[0,1]
	v_pk_add_f32 v[0:1], v[0:1], v[2:3] op_sel:[0,1] op_sel_hi:[1,0]
	v_pk_add_f32 v[8:9], v[8:9], v[46:47]
	v_mov_b32_e32 v2, v4
	v_mov_b32_e32 v3, v1
	;; [unrolled: 1-line block ×3, first 2 shown]
	ds_write2_b64 v55, v[8:9], v[2:3] offset1:11
	ds_write_b64 v55, v[0:1] offset:176
	s_and_saveexec_b64 s[4:5], vcc
	s_cbranch_execz .LBB0_17
; %bb.16:
	v_mul_lo_u16_e32 v0, 33, v17
	v_lshlrev_b32_e32 v1, 3, v19
	v_lshlrev_b32_e32 v0, 3, v0
	v_add3_u32 v4, 0, v1, v0
	v_pk_add_f32 v[0:1], v[28:29], v[36:37]
	v_mov_b32_e32 v2, v26
	v_pk_add_f32 v[0:1], v[0:1], v[38:39]
	v_mov_b32_e32 v3, v25
	v_mov_b32_e32 v25, v27
	ds_write2_b64 v4, v[0:1], v[2:3] offset1:11
	ds_write_b64 v4, v[24:25] offset:176
.LBB0_17:
	s_or_b64 exec, exec, s[4:5]
	s_movk_i32 s4, 0xf9
	v_mul_lo_u16_sdwa v0, v16, s4 dst_sel:DWORD dst_unused:UNUSED_PAD src0_sel:BYTE_0 src1_sel:DWORD
	v_lshrrev_b16_e32 v19, 13, v0
	v_mul_lo_u16_e32 v0, 33, v19
	v_sub_u16_e32 v23, v16, v0
	v_mov_b32_e32 v0, 10
	v_mul_u32_u24_sdwa v0, v23, v0 dst_sel:DWORD dst_unused:UNUSED_PAD src0_sel:BYTE_0 src1_sel:DWORD
	v_lshlrev_b32_e32 v0, 3, v0
	s_waitcnt lgkmcnt(0)
	s_barrier
	global_load_dwordx4 v[2:5], v0, s[8:9] offset:240
	global_load_dwordx4 v[28:31], v0, s[8:9] offset:176
	;; [unrolled: 1-line block ×5, first 2 shown]
	v_add_u32_e32 v25, 0x1000, v54
	ds_read_b64 v[0:1], v54
	ds_read_b64 v[10:11], v41
	;; [unrolled: 1-line block ×3, first 2 shown]
	v_add_u32_e32 v17, 0x2000, v54
	ds_read_b64 v[60:61], v42
	ds_read_b64 v[62:63], v54 offset:10560
	v_add_u32_e32 v26, 0x1800, v54
	ds_read2_b64 v[44:47], v25 offset0:16 offset1:148
	ds_read2_b64 v[48:51], v17 offset0:32 offset1:164
	;; [unrolled: 1-line block ×3, first 2 shown]
	s_waitcnt lgkmcnt(6)
	v_mov_b32_e32 v64, v11
	s_mov_b32 s10, 0xbf0a6770
	s_waitcnt lgkmcnt(3)
	v_mov_b32_e32 v26, v63
	s_waitcnt lgkmcnt(1)
	v_mov_b32_e32 v66, v51
	s_mov_b32 s11, 0x3f575c64
	s_mov_b32 s4, s11
	;; [unrolled: 1-line block ×13, first 2 shown]
	v_mul_u32_u24_e32 v19, 0xb58, v19
	v_lshlrev_b32_sdwa v21, v21, v23 dst_sel:DWORD dst_unused:UNUSED_PAD src0_sel:DWORD src1_sel:BYTE_0
	v_add3_u32 v19, 0, v19, v21
	s_waitcnt lgkmcnt(0)
	s_barrier
	s_waitcnt vmcnt(4)
	v_pk_mul_f32 v[68:69], v[50:51], v[2:3]
	s_nop 0
	v_mov_b32_e32 v68, v3
	v_pk_mul_f32 v[70:71], v[62:63], v[4:5]
	s_waitcnt vmcnt(3)
	v_mov_b32_e32 v72, v31
	v_mov_b32_e32 v73, v30
	v_pk_mul_f32 v[30:31], v[30:31], v[10:11] op_sel_hi:[1,0]
	s_waitcnt vmcnt(2)
	v_pk_mul_f32 v[74:75], v[6:7], v[52:53] op_sel:[0,1]
	v_pk_mul_f32 v[76:77], v[8:9], v[44:45] op_sel:[0,1]
	s_waitcnt vmcnt(1)
	v_pk_mul_f32 v[78:79], v[32:33], v[46:47] op_sel:[0,1]
	v_mov_b32_e32 v80, v35
	s_waitcnt vmcnt(0)
	v_pk_mul_f32 v[82:83], v[58:59], v[36:37] op_sel:[0,1]
	v_mov_b32_e32 v84, v39
	v_mov_b32_e32 v70, v5
	;; [unrolled: 1-line block ×3, first 2 shown]
	v_pk_mul_f32 v[68:69], v[50:51], v[68:69]
	v_pk_fma_f32 v[64:65], v[72:73], v[64:65], v[30:31]
	v_pk_fma_f32 v[10:11], v[72:73], v[10:11], v[30:31] op_sel:[0,1,0] neg_lo:[0,0,1] neg_hi:[0,0,1]
	v_pk_fma_f32 v[72:73], v[6:7], v[52:53], v[74:75] op_sel:[0,0,1] op_sel_hi:[1,1,0]
	v_pk_fma_f32 v[6:7], v[6:7], v[52:53], v[74:75] op_sel:[0,0,1] op_sel_hi:[1,0,0] neg_lo:[1,0,0] neg_hi:[1,0,0]
	v_pk_fma_f32 v[30:31], v[8:9], v[44:45], v[76:77] op_sel:[0,0,1] op_sel_hi:[1,0,0]
	v_pk_fma_f32 v[8:9], v[8:9], v[44:45], v[76:77] op_sel:[0,0,1] op_sel_hi:[1,0,0] neg_lo:[1,0,0] neg_hi:[1,0,0]
	;; [unrolled: 2-line block ×3, first 2 shown]
	v_pk_mul_f32 v[46:47], v[56:57], v[80:81] op_sel_hi:[1,0]
	v_pk_fma_f32 v[52:53], v[58:59], v[36:37], v[82:83] op_sel:[0,0,1] op_sel_hi:[1,0,0]
	v_pk_fma_f32 v[36:37], v[58:59], v[36:37], v[82:83] op_sel:[0,0,1] op_sel_hi:[1,0,0] neg_lo:[0,0,1] neg_hi:[0,0,1]
	v_pk_mul_f32 v[58:59], v[48:49], v[84:85] op_sel_hi:[1,0]
	v_mov_b32_e32 v88, v71
	v_pk_mul_f32 v[70:71], v[62:63], v[70:71]
	v_pk_fma_f32 v[50:51], v[50:51], v[2:3], v[86:87]
	v_pk_fma_f32 v[2:3], v[66:67], v[2:3], v[68:69] neg_lo:[0,0,1] neg_hi:[0,0,1]
	v_mov_b32_e32 v65, v11
	v_mov_b32_e32 v73, v7
	v_pk_fma_f32 v[6:7], v[56:57], v[34:35], v[46:47] op_sel:[0,0,1] op_sel_hi:[1,0,0]
	v_pk_fma_f32 v[10:11], v[56:57], v[34:35], v[46:47] op_sel:[0,0,1] op_sel_hi:[1,0,0] neg_lo:[0,0,1] neg_hi:[0,0,1]
	v_pk_fma_f32 v[56:57], v[48:49], v[38:39], v[58:59] op_sel:[0,0,1] op_sel_hi:[1,1,0]
	v_pk_fma_f32 v[38:39], v[48:49], v[38:39], v[58:59] op_sel:[0,0,1] op_sel_hi:[1,0,0] neg_lo:[0,0,1] neg_hi:[0,0,1]
	v_pk_add_f32 v[48:49], v[30:31], v[52:53] neg_lo:[0,1] neg_hi:[0,1]
	v_pk_add_f32 v[58:59], v[8:9], v[36:37]
	v_pk_fma_f32 v[62:63], v[62:63], v[4:5], v[88:89]
	v_pk_fma_f32 v[4:5], v[26:27], v[4:5], v[70:71] neg_lo:[0,0,1] neg_hi:[0,0,1]
	v_pk_add_f32 v[34:35], v[30:31], v[52:53]
	v_mov_b32_e32 v51, v2
	v_mov_b32_e32 v2, v59
	;; [unrolled: 1-line block ×5, first 2 shown]
	v_pk_mul_f32 v[4:5], v[2:3], s[14:15]
	v_pk_mul_f32 v[76:77], v[34:35], s[4:5]
	v_mov_b32_e32 v5, v4
	s_mov_b32 s4, 0xbe903f40
	v_pk_fma_f32 v[74:75], v[2:3], s[14:15], v[4:5] neg_lo:[1,0,0] neg_hi:[1,0,0]
	v_pk_fma_f32 v[2:3], v[2:3], s[14:15], v[4:5]
	v_pk_add_f32 v[4:5], v[44:45], v[6:7] neg_lo:[0,1] neg_hi:[0,1]
	v_pk_add_f32 v[82:83], v[32:33], v[10:11]
	s_mov_b32 s5, 0xbf75a155
	v_mov_b32_e32 v66, v30
	v_mov_b32_e32 v68, v44
	;; [unrolled: 1-line block ×3, first 2 shown]
	v_pk_add_f32 v[52:53], v[8:9], v[36:37] neg_lo:[0,1] neg_hi:[0,1]
	v_pk_add_f32 v[30:31], v[44:45], v[6:7]
	v_pk_add_f32 v[44:45], v[32:33], v[10:11] neg_lo:[0,1] neg_hi:[0,1]
	v_mov_b32_e32 v5, v83
	s_mov_b32 s12, s5
	v_mov_b32_e32 v67, v9
	v_mov_b32_e32 v70, v6
	v_pk_fma_f32 v[78:79], v[52:53], s[10:11], v[76:77] op_sel:[1,0,0] neg_lo:[1,0,0] neg_hi:[1,0,0]
	v_pk_mul_f32 v[8:9], v[4:5], s[4:5]
	v_pk_mul_f32 v[6:7], v[30:31], s[12:13]
	v_mov_b32_e32 v52, v45
	s_mov_b32 s16, s4
	v_mov_b32_e32 v71, v11
	v_mov_b32_e32 v57, v39
	;; [unrolled: 1-line block ×4, first 2 shown]
	v_pk_mul_f32 v[10:11], v[52:53], s[16:17]
	v_mov_b32_e32 v7, v8
	v_mov_b32_e32 v69, v33
	v_pk_fma_f32 v[84:85], v[38:39], s[12:13], v[10:11]
	v_pk_fma_f32 v[32:33], v[4:5], s[4:5], v[6:7]
	v_mov_b32_e32 v7, v75
	v_pk_mul_f32 v[74:75], v[28:29], v[60:61] op_sel:[0,1]
	v_mov_b32_e32 v26, v85
	v_pk_fma_f32 v[84:85], v[28:29], v[60:61], v[74:75] op_sel:[0,0,1] op_sel_hi:[1,1,0]
	v_pk_fma_f32 v[28:29], v[28:29], v[60:61], v[74:75] op_sel:[0,0,1] op_sel_hi:[1,0,0] neg_lo:[1,0,0] neg_hi:[1,0,0]
	s_mov_b32 s16, 0x3ed4b147
	v_mov_b32_e32 v85, v29
	v_pk_add_f32 v[74:75], v[84:85], v[62:63] neg_lo:[0,1] neg_hi:[0,1]
	v_pk_add_f32 v[60:61], v[84:85], v[62:63]
	v_pk_mul_f32 v[28:29], v[74:75], s[18:19] op_sel:[1,0] op_sel_hi:[0,0]
	v_pk_add_f32 v[104:105], v[64:65], v[50:51] neg_lo:[0,1] neg_hi:[0,1]
	v_pk_fma_f32 v[98:99], v[60:61], s[16:17], v[28:29] op_sel_hi:[1,0,1]
	v_pk_fma_f32 v[100:101], v[60:61], s[16:17], v[28:29] op_sel_hi:[1,0,1] neg_lo:[0,0,1] neg_hi:[0,0,1]
	v_pk_add_f32 v[102:103], v[64:65], v[50:51]
	v_pk_mul_f32 v[106:107], v[104:105], s[24:25] op_sel_hi:[1,0]
	v_pk_add_f32 v[114:115], v[72:73], v[56:57] neg_lo:[0,1] neg_hi:[0,1]
	v_pk_add_f32 v[84:85], v[84:85], v[0:1]
	v_mov_b32_e32 v36, v30
	v_pk_fma_f32 v[30:31], v[38:39], s[12:13], v[10:11] neg_lo:[0,0,1] neg_hi:[0,0,1]
	s_mov_b32 s13, 0xbe11bafb
	s_mov_b32 s12, s11
	v_mov_b32_e32 v88, v83
	v_mov_b32_e32 v89, v59
	;; [unrolled: 1-line block ×6, first 2 shown]
	v_pk_fma_f32 v[108:109], v[102:103], s[14:15], v[106:107] op_sel:[0,0,1] op_sel_hi:[1,0,0]
	v_pk_fma_f32 v[106:107], v[102:103], s[14:15], v[106:107] op_sel:[0,0,1] op_sel_hi:[1,0,0] neg_lo:[0,0,1] neg_hi:[0,0,1]
	v_pk_add_f32 v[112:113], v[72:73], v[56:57]
	s_mov_b32 s26, s5
	v_pk_mul_f32 v[116:117], v[114:115], s[28:29] op_sel_hi:[1,0]
	v_pk_add_f32 v[64:65], v[84:85], v[64:65]
	v_mov_b32_e32 v58, v53
	v_pk_mul_f32 v[52:53], v[52:53], s[20:21]
	v_pk_mul_f32 v[88:89], v[88:89], s[12:13]
	;; [unrolled: 1-line block ×3, first 2 shown]
	v_pk_add_f32 v[28:29], v[28:29], v[0:1]
	v_mov_b32_e32 v110, v108
	v_mov_b32_e32 v111, v107
	v_pk_fma_f32 v[118:119], v[112:113], s[26:27], v[116:117] op_sel:[0,0,1] op_sel_hi:[1,0,0]
	v_pk_fma_f32 v[116:117], v[112:113], s[26:27], v[116:117] op_sel:[0,0,1] op_sel_hi:[1,0,0] neg_lo:[0,0,1] neg_hi:[0,0,1]
	v_pk_add_f32 v[64:65], v[64:65], v[72:73]
	v_pk_fma_f32 v[86:87], v[38:39], s[12:13], v[52:53]
	v_pk_fma_f32 v[38:39], v[38:39], s[12:13], v[52:53] neg_lo:[0,0,1] neg_hi:[0,0,1]
	v_pk_fma_f32 v[92:93], v[90:91], s[20:21], v[88:89] neg_lo:[1,0,0] neg_hi:[1,0,0]
	v_mov_b32_e32 v120, v118
	v_mov_b32_e32 v121, v117
	v_pk_add_f32 v[64:65], v[64:65], v[66:67]
	v_pk_add_f32 v[28:29], v[110:111], v[28:29]
	v_mov_b32_e32 v9, v88
	v_mov_b32_e32 v53, v48
	v_pk_add_f32 v[64:65], v[64:65], v[68:69]
	v_pk_add_f32 v[28:29], v[120:121], v[28:29]
	v_mov_b32_e32 v92, v87
	v_pk_add_f32 v[48:49], v[8:9], v[52:53] neg_lo:[0,1] neg_hi:[0,1]
	v_mov_b32_e32 v47, v37
	v_mov_b32_e32 v37, v4
	v_pk_add_f32 v[64:65], v[64:65], v[70:71]
	v_pk_add_f32 v[28:29], v[92:93], v[28:29]
	v_mov_b32_e32 v87, v49
	v_pk_fma_f32 v[80:81], v[58:59], s[10:11], v[76:77]
	v_mov_b32_e32 v82, v45
	v_pk_mul_f32 v[94:95], v[36:37], s[14:15]
	v_pk_add_f32 v[46:47], v[64:65], v[46:47]
	v_pk_add_f32 v[48:49], v[86:87], v[28:29]
	v_pk_fma_f32 v[28:29], v[58:59], s[10:11], v[76:77] neg_lo:[0,0,1] neg_hi:[0,0,1]
	v_mov_b32_e32 v79, v81
	v_pk_fma_f32 v[44:45], v[44:45], s[22:23], v[94:95] op_sel:[1,0,0] neg_lo:[1,0,0] neg_hi:[1,0,0]
	v_pk_fma_f32 v[96:97], v[82:83], s[22:23], v[94:95]
	v_pk_add_f32 v[46:47], v[46:47], v[56:57]
	v_mov_b32_e32 v56, v102
	v_mov_b32_e32 v57, v104
	s_mov_b32 s30, s5
	v_mov_b32_e32 v81, v29
	v_pk_fma_f32 v[28:29], v[82:83], s[22:23], v[94:95] neg_lo:[0,0,1] neg_hi:[0,0,1]
	s_mov_b32 s12, 0xbf7d64f0
	v_mov_b32_e32 v45, v97
	v_pk_mul_f32 v[56:57], v[56:57], s[30:31]
	s_mov_b32 s30, 0x3f68dda4
	v_mov_b32_e32 v97, v29
	s_mov_b32 s22, s13
	v_pk_mul_f32 v[28:29], v[74:75], s[12:13] op_sel:[1,0] op_sel_hi:[0,0]
	v_pk_add_f32 v[46:47], v[46:47], v[50:51]
	v_mov_b32_e32 v50, v105
	v_mov_b32_e32 v51, v103
	s_mov_b32 s29, s5
	v_mov_b32_e32 v68, v112
	v_mov_b32_e32 v69, v114
	s_mov_b32 s17, s30
	v_pk_fma_f32 v[52:53], v[60:61], s[22:23], v[28:29] op_sel_hi:[1,0,1]
	v_pk_fma_f32 v[28:29], v[60:61], s[22:23], v[28:29] op_sel_hi:[1,0,1] neg_lo:[0,0,1] neg_hi:[0,0,1]
	v_pk_add_f32 v[46:47], v[46:47], v[62:63]
	v_pk_fma_f32 v[62:63], v[50:51], s[28:29], v[56:57] neg_lo:[1,0,0] neg_hi:[1,0,0]
	v_pk_fma_f32 v[64:65], v[50:51], s[28:29], v[56:57]
	v_mov_b32_e32 v66, v115
	v_mov_b32_e32 v67, v113
	s_mov_b32 s31, s16
	v_pk_mul_f32 v[68:69], v[68:69], s[16:17]
	v_mov_b32_e32 v76, v52
	v_mov_b32_e32 v77, v29
	;; [unrolled: 1-line block ×3, first 2 shown]
	v_pk_fma_f32 v[50:51], v[50:51], s[28:29], v[56:57] neg_lo:[0,0,1] neg_hi:[0,0,1]
	v_mov_b32_e32 v63, v65
	v_pk_fma_f32 v[70:71], v[66:67], s[30:31], v[68:69] neg_lo:[1,0,0] neg_hi:[1,0,0]
	v_pk_fma_f32 v[72:73], v[66:67], s[30:31], v[68:69]
	v_pk_add_f32 v[76:77], v[76:77], v[0:1]
	v_pk_add_f32 v[28:29], v[28:29], v[0:1]
	v_mov_b32_e32 v65, v51
	v_pk_fma_f32 v[52:53], v[66:67], s[30:31], v[68:69] neg_lo:[0,0,1] neg_hi:[0,0,1]
	v_mov_b32_e32 v71, v73
	v_pk_add_f32 v[50:51], v[64:65], v[76:77]
	v_pk_add_f32 v[28:29], v[62:63], v[28:29]
	v_mov_b32_e32 v73, v53
	v_pk_mul_f32 v[64:65], v[74:75], s[24:25] op_sel:[1,0] op_sel_hi:[0,0]
	s_mov_b32 s28, s21
	v_pk_add_f32 v[50:51], v[72:73], v[50:51]
	v_pk_add_f32 v[28:29], v[70:71], v[28:29]
	v_pk_fma_f32 v[66:67], v[60:61], s[14:15], v[64:65] op_sel_hi:[1,0,1]
	v_pk_fma_f32 v[64:65], v[60:61], s[14:15], v[64:65] op_sel_hi:[1,0,1] neg_lo:[0,0,1] neg_hi:[0,0,1]
	v_pk_mul_f32 v[70:71], v[104:105], s[28:29] op_sel_hi:[1,0]
	v_pk_add_f32 v[50:51], v[80:81], v[50:51]
	v_pk_add_f32 v[28:29], v[78:79], v[28:29]
	v_mov_b32_e32 v68, v66
	v_mov_b32_e32 v69, v65
	v_pk_fma_f32 v[72:73], v[102:103], s[22:23], v[70:71] op_sel:[0,0,1] op_sel_hi:[1,0,0]
	v_pk_fma_f32 v[70:71], v[102:103], s[22:23], v[70:71] op_sel:[0,0,1] op_sel_hi:[1,0,0] neg_lo:[0,0,1] neg_hi:[0,0,1]
	s_mov_b32 s28, s11
	v_pk_mul_f32 v[78:79], v[114:115], s[10:11] op_sel_hi:[1,0]
	v_pk_add_f32 v[50:51], v[96:97], v[50:51]
	v_pk_add_f32 v[28:29], v[44:45], v[28:29]
	v_pk_mul_f32 v[44:45], v[58:59], s[4:5]
	s_mov_b32 s34, s5
	s_mov_b32 s35, s4
	v_pk_add_f32 v[68:69], v[68:69], v[0:1]
	v_mov_b32_e32 v76, v72
	v_mov_b32_e32 v77, v71
	v_pk_fma_f32 v[80:81], v[112:113], s[28:29], v[78:79] op_sel:[0,0,1] op_sel_hi:[1,0,0]
	v_pk_fma_f32 v[78:79], v[112:113], s[28:29], v[78:79] op_sel:[0,0,1] op_sel_hi:[1,0,0] neg_lo:[0,0,1] neg_hi:[0,0,1]
	v_pk_mul_f32 v[86:87], v[74:75], s[4:5] op_sel:[1,0] op_sel_hi:[0,0]
	v_pk_fma_f32 v[90:91], v[90:91], s[20:21], v[88:89]
	ds_write2_b64 v19, v[48:49], v[50:51] offset0:66 offset1:99
	v_pk_fma_f32 v[48:49], v[34:35], s[34:35], v[44:45]
	v_pk_fma_f32 v[50:51], v[34:35], s[34:35], v[44:45] neg_lo:[1,0,0] neg_hi:[1,0,0]
	v_pk_mul_f32 v[52:53], v[82:83], s[30:31]
	v_mov_b32_e32 v84, v80
	v_mov_b32_e32 v85, v79
	v_pk_add_f32 v[68:69], v[76:77], v[68:69]
	v_pk_fma_f32 v[88:89], v[60:61], s[26:27], v[86:87] op_sel_hi:[1,0,1]
	v_pk_fma_f32 v[86:87], v[60:61], s[26:27], v[86:87] op_sel_hi:[1,0,1] neg_lo:[0,0,1] neg_hi:[0,0,1]
	v_pk_mul_f32 v[94:95], v[104:105], s[20:21] op_sel_hi:[1,0]
	v_mov_b32_e32 v50, v48
	v_pk_fma_f32 v[56:57], v[36:37], s[16:17], v[52:53]
	v_pk_fma_f32 v[62:63], v[36:37], s[16:17], v[52:53] neg_lo:[1,0,0] neg_hi:[1,0,0]
	v_pk_add_f32 v[68:69], v[84:85], v[68:69]
	v_mov_b32_e32 v92, v88
	v_mov_b32_e32 v93, v87
	v_pk_fma_f32 v[96:97], v[102:103], s[28:29], v[94:95] op_sel:[0,0,1] op_sel_hi:[1,0,0]
	v_pk_fma_f32 v[94:95], v[102:103], s[28:29], v[94:95] op_sel:[0,0,1] op_sel_hi:[1,0,0] neg_lo:[0,0,1] neg_hi:[0,0,1]
	v_pk_mul_f32 v[120:121], v[114:115], s[24:25] op_sel_hi:[1,0]
	v_mov_b32_e32 v62, v56
	v_pk_add_f32 v[50:51], v[50:51], v[68:69]
	v_pk_mul_f32 v[58:59], v[58:59], s[30:31]
	v_pk_add_f32 v[92:93], v[92:93], v[0:1]
	v_mov_b32_e32 v110, v96
	v_mov_b32_e32 v111, v95
	v_pk_fma_f32 v[122:123], v[112:113], s[14:15], v[120:121] op_sel:[0,0,1] op_sel_hi:[1,0,0]
	v_pk_fma_f32 v[120:121], v[112:113], s[14:15], v[120:121] op_sel:[0,0,1] op_sel_hi:[1,0,0] neg_lo:[0,0,1] neg_hi:[0,0,1]
	v_pk_add_f32 v[50:51], v[62:63], v[50:51]
	v_pk_fma_f32 v[62:63], v[34:35], s[16:17], v[58:59]
	v_pk_fma_f32 v[68:69], v[34:35], s[16:17], v[58:59] neg_lo:[1,0,0] neg_hi:[1,0,0]
	v_pk_mul_f32 v[76:77], v[82:83], s[12:13]
	s_mov_b32 s30, s13
	s_mov_b32 s31, s12
	v_mov_b32_e32 v124, v122
	v_mov_b32_e32 v125, v121
	v_pk_add_f32 v[92:93], v[110:111], v[92:93]
	v_mov_b32_e32 v68, v62
	v_pk_fma_f32 v[82:83], v[36:37], s[30:31], v[76:77]
	v_pk_fma_f32 v[84:85], v[36:37], s[30:31], v[76:77] neg_lo:[1,0,0] neg_hi:[1,0,0]
	v_pk_add_f32 v[92:93], v[124:125], v[92:93]
	v_mov_b32_e32 v84, v82
	v_pk_add_f32 v[68:69], v[68:69], v[92:93]
	v_mov_b32_e32 v87, v89
	v_pk_add_f32 v[68:69], v[84:85], v[68:69]
	ds_write2_b64 v19, v[50:51], v[68:69] offset0:132 offset1:165
	v_pk_fma_f32 v[50:51], v[34:35], s[16:17], v[58:59] neg_lo:[0,0,1] neg_hi:[0,0,1]
	v_mov_b32_e32 v65, v67
	v_mov_b32_e32 v51, v63
	v_pk_add_f32 v[62:63], v[86:87], v[0:1]
	v_mov_b32_e32 v95, v97
	v_pk_fma_f32 v[34:35], v[34:35], s[34:35], v[44:45] neg_lo:[0,0,1] neg_hi:[0,0,1]
	v_pk_add_f32 v[44:45], v[64:65], v[0:1]
	v_mov_b32_e32 v71, v73
	v_mov_b32_e32 v121, v123
	v_pk_add_f32 v[62:63], v[94:95], v[62:63]
	v_mov_b32_e32 v79, v81
	v_pk_add_f32 v[44:45], v[70:71], v[44:45]
	v_pk_fma_f32 v[58:59], v[36:37], s[30:31], v[76:77] neg_lo:[0,0,1] neg_hi:[0,0,1]
	v_pk_add_f32 v[62:63], v[120:121], v[62:63]
	v_mov_b32_e32 v35, v49
	v_pk_fma_f32 v[36:37], v[36:37], s[16:17], v[52:53] neg_lo:[0,0,1] neg_hi:[0,0,1]
	v_pk_add_f32 v[44:45], v[78:79], v[44:45]
	v_mov_b32_e32 v59, v83
	v_pk_add_f32 v[50:51], v[50:51], v[62:63]
	v_mov_b32_e32 v37, v57
	v_pk_add_f32 v[34:35], v[34:35], v[44:45]
	v_pk_add_f32 v[50:51], v[58:59], v[50:51]
	;; [unrolled: 1-line block ×3, first 2 shown]
	v_mov_b32_e32 v101, v99
	ds_write2_b64 v19, v[50:51], v[34:35] offset0:198 offset1:231
	v_pk_add_f32 v[34:35], v[100:101], v[0:1]
	v_mov_b32_e32 v107, v109
	v_mov_b32_e32 v117, v119
	v_pk_add_f32 v[34:35], v[106:107], v[34:35]
	v_mov_b32_e32 v36, v39
	v_pk_add_f32 v[34:35], v[116:117], v[34:35]
	;; [unrolled: 2-line block ×3, first 2 shown]
	v_mov_b32_e32 v39, v90
	v_pk_mul_f32 v[36:37], v[74:75], s[10:11] op_sel:[1,0] op_sel_hi:[0,0]
	v_pk_add_f32 v[34:35], v[38:39], v[34:35]
	v_pk_fma_f32 v[38:39], v[60:61], s[28:29], v[36:37] op_sel_hi:[1,0,1]
	v_pk_fma_f32 v[36:37], v[60:61], s[28:29], v[36:37] op_sel_hi:[1,0,1] neg_lo:[0,0,1] neg_hi:[0,0,1]
	v_pk_mul_f32 v[48:49], v[104:105], s[18:19] op_sel_hi:[1,0]
	v_mov_b32_e32 v44, v36
	v_mov_b32_e32 v45, v39
	v_pk_fma_f32 v[50:51], v[102:103], s[16:17], v[48:49] op_sel:[0,0,1] op_sel_hi:[1,0,0] neg_lo:[0,0,1] neg_hi:[0,0,1]
	v_pk_fma_f32 v[52:53], v[102:103], s[16:17], v[48:49] op_sel:[0,0,1] op_sel_hi:[1,0,0]
	v_pk_add_f32 v[38:39], v[38:39], v[0:1]
	v_pk_add_f32 v[36:37], v[36:37], v[0:1]
	;; [unrolled: 1-line block ×3, first 2 shown]
	v_pk_mul_f32 v[44:45], v[102:103], s[16:17] op_sel_hi:[1,0]
	v_mov_b32_e32 v51, v53
	v_pk_mul_f32 v[52:53], v[112:113], s[22:23] op_sel_hi:[1,0]
	v_pk_mul_f32 v[56:57], v[114:115], s[12:13] op_sel_hi:[1,0]
	v_mov_b32_e32 v58, v52
	v_mov_b32_e32 v59, v44
	v_mov_b32_e32 v60, v57
	v_mov_b32_e32 v61, v49
	v_mov_b32_e32 v44, v53
	v_mov_b32_e32 v52, v56
	v_mov_b32_e32 v53, v48
	v_add_u32_e32 v2, 0x800, v19
	v_pk_add_f32 v[58:59], v[58:59], v[60:61]
	v_pk_add_f32 v[44:45], v[44:45], v[52:53] neg_lo:[0,1] neg_hi:[0,1]
	v_pk_fma_f32 v[48:49], v[112:113], s[22:23], v[56:57] op_sel:[0,0,1] op_sel_hi:[1,0,0] neg_lo:[0,0,1] neg_hi:[0,0,1]
	v_pk_fma_f32 v[52:53], v[112:113], s[22:23], v[56:57] op_sel:[0,0,1] op_sel_hi:[1,0,0]
	ds_write2_b64 v2, v[28:29], v[34:35] offset0:8 offset1:41
	v_mov_b32_e32 v49, v53
	v_mov_b32_e32 v2, v59
	v_pk_add_f32 v[0:1], v[50:51], v[0:1]
	v_pk_add_f32 v[38:39], v[2:3], v[38:39]
	;; [unrolled: 1-line block ×3, first 2 shown]
	v_mov_b32_e32 v2, v31
	v_pk_add_f32 v[36:37], v[44:45], v[36:37]
	v_pk_add_f32 v[38:39], v[58:59], v[38:39]
	v_mov_b32_e32 v9, v44
	v_pk_add_f32 v[0:1], v[2:3], v[0:1]
	v_mov_b32_e32 v31, v33
	v_pk_add_f32 v[36:37], v[8:9], v[36:37]
	v_pk_add_f32 v[30:31], v[30:31], v[0:1]
	v_mov_b32_e32 v0, v38
	v_mov_b32_e32 v1, v8
	v_pk_add_f32 v[2:3], v[26:27], v[38:39]
	v_pk_fma_f32 v[0:1], v[4:5], s[4:5], v[0:1] neg_lo:[0,0,1] neg_hi:[0,0,1]
	v_mov_b32_e32 v11, v37
	v_mov_b32_e32 v3, v1
	v_pk_add_f32 v[0:1], v[6:7], v[10:11]
	v_add_u32_e32 v4, 0x1400, v54
	v_pk_add_f32 v[0:1], v[0:1], v[2:3]
	ds_write2_b64 v19, v[46:47], v[0:1] offset1:33
	ds_write_b64 v19, v[30:31] offset:2640
	v_add_u32_e32 v0, 0x800, v54
	s_waitcnt lgkmcnt(0)
	s_barrier
	ds_read2_b64 v[0:3], v0 offset0:107 offset1:239
	ds_read2_b64 v[4:7], v4 offset0:86 offset1:218
	;; [unrolled: 1-line block ×3, first 2 shown]
	ds_read_b64 v[32:33], v54
	ds_read_b64 v[36:37], v42
	s_movk_i32 s4, 0x63
	v_cmp_gt_u32_e32 vcc, s4, v16
	s_and_saveexec_b64 s[4:5], vcc
	s_cbranch_execz .LBB0_19
; %bb.18:
	ds_read_b64 v[28:29], v41
	ds_read_b64 v[26:27], v54 offset:10824
	ds_read_b64 v[34:35], v54 offset:5016
	;; [unrolled: 1-line block ×3, first 2 shown]
	s_waitcnt lgkmcnt(2)
	v_mov_b32_e32 v24, v26
.LBB0_19:
	s_or_b64 exec, exec, s[4:5]
	v_mul_i32_i24_e32 v38, 3, v18
	v_mov_b32_e32 v39, 0
	v_mul_u32_u24_e32 v17, 3, v16
	v_lshl_add_u64 v[48:49], v[38:39], 3, s[8:9]
	v_lshlrev_b32_e32 v17, 3, v17
	global_load_dwordx2 v[52:53], v[48:49], off offset:2832
	global_load_dwordx4 v[44:47], v[48:49], off offset:2816
	s_nop 0
	global_load_dwordx4 v[48:51], v17, s[8:9] offset:2816
	global_load_dwordx2 v[56:57], v17, s[8:9] offset:2832
	s_waitcnt lgkmcnt(0)
	s_barrier
	s_waitcnt vmcnt(3)
	v_pk_mul_f32 v[62:63], v[52:53], v[10:11] op_sel:[0,1]
	s_waitcnt vmcnt(2)
	v_pk_mul_f32 v[58:59], v[44:45], v[2:3] op_sel:[0,1]
	v_pk_mul_f32 v[60:61], v[46:47], v[6:7] op_sel:[0,1]
	s_waitcnt vmcnt(1)
	v_pk_mul_f32 v[64:65], v[48:49], v[0:1] op_sel:[0,1]
	;; [unrolled: 3-line block ×3, first 2 shown]
	v_pk_fma_f32 v[70:71], v[44:45], v[2:3], v[58:59] op_sel:[0,0,1] op_sel_hi:[1,1,0]
	v_pk_fma_f32 v[2:3], v[44:45], v[2:3], v[58:59] op_sel:[0,0,1] op_sel_hi:[1,0,0] neg_lo:[1,0,0] neg_hi:[1,0,0]
	v_pk_fma_f32 v[44:45], v[46:47], v[6:7], v[60:61] op_sel:[0,0,1] op_sel_hi:[1,1,0]
	v_pk_fma_f32 v[6:7], v[46:47], v[6:7], v[60:61] op_sel:[0,0,1] op_sel_hi:[1,0,0] neg_lo:[1,0,0] neg_hi:[1,0,0]
	;; [unrolled: 2-line block ×6, first 2 shown]
	v_mov_b32_e32 v45, v7
	v_mov_b32_e32 v53, v1
	;; [unrolled: 1-line block ×6, first 2 shown]
	v_pk_add_f32 v[0:1], v[36:37], v[44:45] neg_lo:[0,1] neg_hi:[0,1]
	v_pk_add_f32 v[4:5], v[32:33], v[48:49] neg_lo:[0,1] neg_hi:[0,1]
	;; [unrolled: 1-line block ×4, first 2 shown]
	v_pk_fma_f32 v[8:9], v[36:37], 2.0, v[0:1] op_sel_hi:[1,0,1] neg_lo:[0,0,1] neg_hi:[0,0,1]
	v_pk_fma_f32 v[32:33], v[32:33], 2.0, v[4:5] op_sel_hi:[1,0,1] neg_lo:[0,0,1] neg_hi:[0,0,1]
	;; [unrolled: 1-line block ×4, first 2 shown]
	v_pk_add_f32 v[44:45], v[4:5], v[6:7] op_sel:[0,1] op_sel_hi:[1,0]
	v_pk_add_f32 v[6:7], v[4:5], v[6:7] op_sel:[0,1] op_sel_hi:[1,0] neg_lo:[0,1] neg_hi:[0,1]
	v_pk_add_f32 v[46:47], v[0:1], v[2:3] op_sel:[0,1] op_sel_hi:[1,0]
	v_pk_add_f32 v[2:3], v[0:1], v[2:3] op_sel:[0,1] op_sel_hi:[1,0] neg_lo:[0,1] neg_hi:[0,1]
	v_pk_add_f32 v[36:37], v[32:33], v[36:37] neg_lo:[0,1] neg_hi:[0,1]
	v_pk_add_f32 v[10:11], v[8:9], v[10:11] neg_lo:[0,1] neg_hi:[0,1]
	v_mov_b32_e32 v45, v7
	v_mov_b32_e32 v47, v3
	v_pk_fma_f32 v[6:7], v[32:33], 2.0, v[36:37] op_sel_hi:[1,0,1] neg_lo:[0,0,1] neg_hi:[0,0,1]
	v_pk_fma_f32 v[2:3], v[8:9], 2.0, v[10:11] op_sel_hi:[1,0,1] neg_lo:[0,0,1] neg_hi:[0,0,1]
	v_pk_fma_f32 v[4:5], v[4:5], 2.0, v[44:45] op_sel_hi:[1,0,1] neg_lo:[0,0,1] neg_hi:[0,0,1]
	ds_write_b64 v54, v[36:37] offset:5808
	ds_write_b64 v54, v[44:45] offset:8712
	v_pk_fma_f32 v[0:1], v[0:1], 2.0, v[46:47] op_sel_hi:[1,0,1] neg_lo:[0,0,1] neg_hi:[0,0,1]
	ds_write_b64 v54, v[6:7]
	ds_write_b64 v54, v[4:5] offset:2904
	ds_write_b64 v42, v[2:3]
	ds_write_b64 v42, v[0:1] offset:2904
	ds_write_b64 v42, v[10:11] offset:5808
	;; [unrolled: 1-line block ×3, first 2 shown]
	s_and_saveexec_b64 s[4:5], vcc
	s_cbranch_execz .LBB0_21
; %bb.20:
	v_add_u32_e32 v0, 0xffffff9d, v16
	v_cndmask_b32_e32 v0, v0, v22, vcc
	v_mul_i32_i24_e32 v38, 3, v0
	v_lshl_add_u64 v[4:5], v[38:39], 3, s[8:9]
	global_load_dwordx4 v[0:3], v[4:5], off offset:2816
	global_load_dwordx2 v[6:7], v[4:5], off offset:2832
	v_mov_b32_e32 v4, v31
	v_mov_b32_e32 v8, v35
	;; [unrolled: 1-line block ×3, first 2 shown]
	s_waitcnt vmcnt(1)
	v_pk_mul_f32 v[4:5], v[4:5], v[2:3] op_sel_hi:[0,1]
	v_pk_mul_f32 v[8:9], v[8:9], v[0:1] op_sel_hi:[0,1]
	s_waitcnt vmcnt(0)
	v_pk_mul_f32 v[10:11], v[10:11], v[6:7] op_sel_hi:[0,1]
	v_pk_fma_f32 v[26:27], v[30:31], v[2:3], v[4:5] op_sel:[0,0,1] op_sel_hi:[1,1,0]
	v_pk_fma_f32 v[2:3], v[30:31], v[2:3], v[4:5] op_sel:[0,0,1] op_sel_hi:[0,1,0] neg_lo:[1,0,0] neg_hi:[1,0,0]
	v_pk_fma_f32 v[4:5], v[34:35], v[0:1], v[8:9] op_sel:[0,0,1] op_sel_hi:[1,1,0]
	v_pk_fma_f32 v[0:1], v[34:35], v[0:1], v[8:9] op_sel:[0,0,1] op_sel_hi:[0,1,0] neg_lo:[1,0,0] neg_hi:[1,0,0]
	;; [unrolled: 2-line block ×3, first 2 shown]
	v_mov_b32_e32 v27, v3
	v_mov_b32_e32 v5, v1
	;; [unrolled: 1-line block ×3, first 2 shown]
	v_pk_add_f32 v[0:1], v[28:29], v[26:27] neg_lo:[0,1] neg_hi:[0,1]
	v_pk_add_f32 v[2:3], v[4:5], v[8:9] neg_lo:[0,1] neg_hi:[0,1]
	v_pk_fma_f32 v[6:7], v[28:29], 2.0, v[0:1] op_sel_hi:[1,0,1] neg_lo:[0,0,1] neg_hi:[0,0,1]
	v_pk_fma_f32 v[4:5], v[4:5], 2.0, v[2:3] op_sel_hi:[1,0,1] neg_lo:[0,0,1] neg_hi:[0,0,1]
	v_pk_add_f32 v[8:9], v[0:1], v[2:3] op_sel:[0,1] op_sel_hi:[1,0]
	v_pk_add_f32 v[2:3], v[0:1], v[2:3] op_sel:[0,1] op_sel_hi:[1,0] neg_lo:[0,1] neg_hi:[0,1]
	v_pk_add_f32 v[4:5], v[6:7], v[4:5] neg_lo:[0,1] neg_hi:[0,1]
	v_mov_b32_e32 v9, v3
	v_pk_fma_f32 v[2:3], v[6:7], 2.0, v[4:5] op_sel_hi:[1,0,1] neg_lo:[0,0,1] neg_hi:[0,0,1]
	v_pk_fma_f32 v[0:1], v[0:1], 2.0, v[8:9] op_sel_hi:[1,0,1] neg_lo:[0,0,1] neg_hi:[0,0,1]
	ds_write_b64 v54, v[4:5] offset:7920
	ds_write_b64 v54, v[2:3] offset:2112
	;; [unrolled: 1-line block ×4, first 2 shown]
.LBB0_21:
	s_or_b64 exec, exec, s[4:5]
	s_waitcnt lgkmcnt(0)
	s_barrier
	ds_read_b64 v[4:5], v54
	s_add_u32 s4, s8, 0x2d08
	v_lshlrev_b32_e32 v0, 3, v16
	s_addc_u32 s5, s9, 0
	v_sub_u32_e32 v6, 0, v0
	v_cmp_ne_u32_e32 vcc, 0, v16
                                        ; implicit-def: $vgpr2_vgpr3
                                        ; implicit-def: $vgpr1
	s_and_saveexec_b64 s[8:9], vcc
	s_xor_b64 s[8:9], exec, s[8:9]
	s_cbranch_execz .LBB0_23
; %bb.22:
	v_mov_b32_e32 v17, 0
	v_lshl_add_u64 v[0:1], v[16:17], 3, s[4:5]
	global_load_dwordx2 v[2:3], v[0:1], off
	ds_read_b64 v[0:1], v6 offset:11616
	v_mov_b32_e32 v9, 0.5
	v_mov_b32_e32 v10, v9
	s_waitcnt lgkmcnt(0)
	v_pk_add_f32 v[24:25], v[0:1], v[4:5]
	v_pk_add_f32 v[0:1], v[4:5], v[0:1] neg_lo:[0,1] neg_hi:[0,1]
	v_mov_b32_e32 v4, v25
	v_mov_b32_e32 v5, v0
	v_pk_mul_f32 v[4:5], v[4:5], 0.5 op_sel_hi:[1,0]
	s_waitcnt vmcnt(0)
	v_mov_b32_e32 v8, v3
	v_mov_b32_e32 v0, v5
	;; [unrolled: 1-line block ×4, first 2 shown]
	v_pk_mul_f32 v[0:1], v[8:9], v[0:1]
	v_pk_mul_f32 v[26:27], v[2:3], v[4:5] op_sel_hi:[0,1]
	v_pk_fma_f32 v[8:9], v[24:25], v[10:11], v[0:1]
	v_pk_fma_f32 v[10:11], v[24:25], v[10:11], v[0:1] neg_lo:[0,0,1] neg_hi:[0,0,1]
	v_add_f32_e32 v0, v26, v8
	v_sub_f32_e32 v1, v9, v27
	ds_write_b32 v54, v0
	v_pk_fma_f32 v[2:3], v[2:3], v[4:5], v[10:11] op_sel_hi:[0,1,1] neg_lo:[1,0,0] neg_hi:[1,0,0]
                                        ; implicit-def: $vgpr4_vgpr5
.LBB0_23:
	s_andn2_saveexec_b64 s[8:9], s[8:9]
	s_cbranch_execz .LBB0_25
; %bb.24:
	s_waitcnt lgkmcnt(0)
	v_mov_b32_e32 v0, v5
	v_pk_add_f32 v[0:1], v[4:5], v[0:1] neg_lo:[0,1] neg_hi:[0,1]
	v_add_f32_e32 v3, v5, v4
	v_mov_b32_e32 v1, 0
	ds_read_b32 v2, v1 offset:5812
	ds_write_b32 v54, v3
	s_waitcnt lgkmcnt(1)
	v_xor_b32_e32 v2, 0x80000000, v2
	ds_write_b32 v1, v2 offset:5812
	v_mov_b64_e32 v[2:3], v[0:1]
.LBB0_25:
	s_or_b64 exec, exec, s[8:9]
	v_mov_b32_e32 v19, 0
	s_waitcnt lgkmcnt(0)
	v_lshl_add_u64 v[4:5], v[18:19], 3, s[4:5]
	global_load_dwordx2 v[4:5], v[4:5], off
	v_mov_b32_e32 v23, v19
	v_lshl_add_u64 v[8:9], v[22:23], 3, s[4:5]
	global_load_dwordx2 v[8:9], v[8:9], off
	v_mov_b32_e32 v21, v19
	v_lshl_add_u64 v[10:11], v[20:21], 3, s[4:5]
	global_load_dwordx2 v[10:11], v[10:11], off
	v_add_u32_e32 v18, 0x210, v16
	v_lshl_add_u64 v[20:21], v[18:19], 3, s[4:5]
	global_load_dwordx2 v[20:21], v[20:21], off
	ds_write_b32 v54, v1 offset:4
	ds_write_b64 v6, v[2:3] offset:11616
	ds_read_b64 v[2:3], v42
	ds_read_b64 v[22:23], v6 offset:10560
	v_mov_b32_e32 v1, 0.5
	v_mov_b32_e32 v24, v1
	s_movk_i32 s8, 0x42
	v_cmp_gt_u32_e32 vcc, s8, v16
	s_waitcnt lgkmcnt(0)
	v_pk_add_f32 v[26:27], v[2:3], v[22:23]
	v_pk_add_f32 v[2:3], v[2:3], v[22:23] neg_lo:[0,1] neg_hi:[0,1]
	v_mov_b32_e32 v22, v27
	v_mov_b32_e32 v23, v2
	v_pk_mul_f32 v[22:23], v[22:23], 0.5 op_sel_hi:[1,0]
	s_waitcnt vmcnt(3)
	v_mov_b32_e32 v0, v5
	v_mov_b32_e32 v2, v23
	;; [unrolled: 1-line block ×4, first 2 shown]
	v_pk_mul_f32 v[2:3], v[0:1], v[2:3]
	s_waitcnt vmcnt(2)
	v_mov_b32_e32 v0, v9
	v_pk_fma_f32 v[28:29], v[26:27], v[24:25], v[2:3]
	v_pk_fma_f32 v[2:3], v[26:27], v[24:25], v[2:3] neg_lo:[0,0,1] neg_hi:[0,0,1]
	v_pk_fma_f32 v[24:25], v[4:5], v[22:23], v[28:29]
	v_pk_fma_f32 v[26:27], v[4:5], v[22:23], v[28:29] op_sel_hi:[0,1,1] neg_lo:[1,0,0] neg_hi:[1,0,0]
	v_mov_b32_e32 v25, v27
	v_pk_fma_f32 v[2:3], v[4:5], v[22:23], v[2:3] op_sel_hi:[0,1,1] neg_lo:[1,0,0] neg_hi:[1,0,0]
	ds_write_b64 v42, v[24:25]
	ds_write_b64 v6, v[2:3] offset:10560
	ds_read_b64 v[2:3], v41
	ds_read_b64 v[4:5], v6 offset:9504
	v_mov_b32_e32 v22, v1
	v_mov_b32_e32 v23, v9
	s_waitcnt lgkmcnt(0)
	v_pk_add_f32 v[24:25], v[2:3], v[4:5]
	v_pk_add_f32 v[2:3], v[2:3], v[4:5] neg_lo:[0,1] neg_hi:[0,1]
	v_mov_b32_e32 v4, v25
	v_mov_b32_e32 v5, v2
	v_pk_mul_f32 v[4:5], v[4:5], 0.5 op_sel_hi:[1,0]
	s_nop 0
	v_mov_b32_e32 v2, v5
	v_mov_b32_e32 v25, v4
	v_pk_mul_f32 v[2:3], v[0:1], v[2:3]
	s_waitcnt vmcnt(1)
	v_mov_b32_e32 v0, v11
	v_pk_fma_f32 v[26:27], v[24:25], v[22:23], v[2:3]
	v_pk_fma_f32 v[2:3], v[24:25], v[22:23], v[2:3] neg_lo:[0,0,1] neg_hi:[0,0,1]
	v_pk_fma_f32 v[22:23], v[8:9], v[4:5], v[26:27]
	v_pk_fma_f32 v[24:25], v[8:9], v[4:5], v[26:27] op_sel_hi:[0,1,1] neg_lo:[1,0,0] neg_hi:[1,0,0]
	v_mov_b32_e32 v23, v25
	v_pk_fma_f32 v[2:3], v[8:9], v[4:5], v[2:3] op_sel_hi:[0,1,1] neg_lo:[1,0,0] neg_hi:[1,0,0]
	ds_write_b64 v41, v[22:23]
	ds_write_b64 v6, v[2:3] offset:9504
	ds_read_b64 v[2:3], v40
	ds_read_b64 v[4:5], v6 offset:8448
	v_mov_b32_e32 v8, v1
	v_mov_b32_e32 v9, v11
	s_waitcnt lgkmcnt(0)
	v_pk_add_f32 v[22:23], v[2:3], v[4:5]
	v_pk_add_f32 v[2:3], v[2:3], v[4:5] neg_lo:[0,1] neg_hi:[0,1]
	v_mov_b32_e32 v4, v23
	v_mov_b32_e32 v5, v2
	v_pk_mul_f32 v[4:5], v[4:5], 0.5 op_sel_hi:[1,0]
	s_nop 0
	v_mov_b32_e32 v2, v5
	v_mov_b32_e32 v23, v4
	v_pk_mul_f32 v[2:3], v[0:1], v[2:3]
	s_waitcnt vmcnt(0)
	v_mov_b32_e32 v0, v21
	v_pk_fma_f32 v[24:25], v[22:23], v[8:9], v[2:3]
	v_pk_fma_f32 v[2:3], v[22:23], v[8:9], v[2:3] neg_lo:[0,0,1] neg_hi:[0,0,1]
	v_pk_fma_f32 v[8:9], v[10:11], v[4:5], v[24:25]
	v_pk_fma_f32 v[22:23], v[10:11], v[4:5], v[24:25] op_sel_hi:[0,1,1] neg_lo:[1,0,0] neg_hi:[1,0,0]
	v_mov_b32_e32 v9, v23
	v_pk_fma_f32 v[2:3], v[10:11], v[4:5], v[2:3] op_sel_hi:[0,1,1] neg_lo:[1,0,0] neg_hi:[1,0,0]
	ds_write_b64 v40, v[8:9]
	ds_write_b64 v6, v[2:3] offset:8448
	ds_read_b64 v[2:3], v54 offset:4224
	ds_read_b64 v[4:5], v6 offset:7392
	v_mov_b32_e32 v8, v1
	v_mov_b32_e32 v9, v21
	s_waitcnt lgkmcnt(0)
	v_pk_add_f32 v[10:11], v[2:3], v[4:5]
	v_pk_add_f32 v[2:3], v[2:3], v[4:5] neg_lo:[0,1] neg_hi:[0,1]
	v_mov_b32_e32 v4, v11
	v_mov_b32_e32 v5, v2
	v_pk_mul_f32 v[4:5], v[4:5], 0.5 op_sel_hi:[1,0]
	s_nop 0
	v_mov_b32_e32 v2, v5
	v_mov_b32_e32 v11, v4
	v_pk_mul_f32 v[2:3], v[0:1], v[2:3]
	s_nop 0
	v_pk_fma_f32 v[22:23], v[10:11], v[8:9], v[2:3]
	v_pk_fma_f32 v[2:3], v[10:11], v[8:9], v[2:3] neg_lo:[0,0,1] neg_hi:[0,0,1]
	v_pk_fma_f32 v[8:9], v[20:21], v[4:5], v[22:23]
	v_pk_fma_f32 v[10:11], v[20:21], v[4:5], v[22:23] op_sel_hi:[0,1,1] neg_lo:[1,0,0] neg_hi:[1,0,0]
	v_mov_b32_e32 v9, v11
	v_pk_fma_f32 v[2:3], v[20:21], v[4:5], v[2:3] op_sel_hi:[0,1,1] neg_lo:[1,0,0] neg_hi:[1,0,0]
	ds_write_b64 v54, v[8:9] offset:4224
	ds_write_b64 v6, v[2:3] offset:7392
	s_and_saveexec_b64 s[8:9], vcc
	s_cbranch_execz .LBB0_27
; %bb.26:
	v_add_u32_e32 v18, 0x294, v16
	v_lshl_add_u64 v[2:3], v[18:19], 3, s[4:5]
	global_load_dwordx2 v[2:3], v[2:3], off
	ds_read_b64 v[4:5], v54 offset:5280
	ds_read_b64 v[8:9], v6 offset:6336
	v_mov_b32_e32 v10, v1
	s_waitcnt lgkmcnt(0)
	v_pk_add_f32 v[18:19], v[4:5], v[8:9]
	v_pk_add_f32 v[4:5], v[4:5], v[8:9] neg_lo:[0,1] neg_hi:[0,1]
	v_mov_b32_e32 v8, v19
	v_mov_b32_e32 v9, v4
	v_pk_mul_f32 v[8:9], v[8:9], 0.5 op_sel_hi:[1,0]
	s_waitcnt vmcnt(0)
	v_mov_b32_e32 v0, v3
	v_mov_b32_e32 v4, v9
	v_mov_b32_e32 v19, v8
	v_mov_b32_e32 v11, v3
	v_pk_mul_f32 v[0:1], v[0:1], v[4:5]
	s_nop 0
	v_pk_fma_f32 v[4:5], v[18:19], v[10:11], v[0:1]
	v_pk_fma_f32 v[0:1], v[18:19], v[10:11], v[0:1] neg_lo:[0,0,1] neg_hi:[0,0,1]
	v_pk_fma_f32 v[10:11], v[2:3], v[8:9], v[4:5]
	v_pk_fma_f32 v[4:5], v[2:3], v[8:9], v[4:5] op_sel_hi:[0,1,1] neg_lo:[1,0,0] neg_hi:[1,0,0]
	v_mov_b32_e32 v11, v5
	v_pk_fma_f32 v[0:1], v[2:3], v[8:9], v[0:1] op_sel_hi:[0,1,1] neg_lo:[1,0,0] neg_hi:[1,0,0]
	ds_write_b64 v54, v[10:11] offset:5280
	ds_write_b64 v6, v[0:1] offset:6336
.LBB0_27:
	s_or_b64 exec, exec, s[8:9]
	s_waitcnt lgkmcnt(0)
	s_barrier
	s_and_saveexec_b64 s[4:5], s[0:1]
	s_cbranch_execz .LBB0_30
; %bb.28:
	v_mul_lo_u32 v2, s3, v14
	v_mul_lo_u32 v3, s2, v15
	v_mad_u64_u32 v[0:1], s[0:1], s2, v14, 0
	v_lshl_add_u32 v10, v16, 3, 0
	v_add3_u32 v1, v1, v3, v2
	ds_read2_b64 v[2:5], v10 offset1:132
	v_lshl_add_u64 v[0:1], v[0:1], 3, s[6:7]
	v_mov_b32_e32 v17, 0
	v_lshl_add_u64 v[0:1], v[12:13], 3, v[0:1]
	v_lshl_add_u64 v[6:7], v[16:17], 3, v[0:1]
	s_waitcnt lgkmcnt(0)
	global_store_dwordx2 v[6:7], v[2:3], off
	v_add_u32_e32 v6, 0x800, v10
	ds_read2_b64 v[6:9], v6 offset0:8 offset1:140
	v_add_u32_e32 v2, 0x84, v16
	v_mov_b32_e32 v3, v17
	v_lshl_add_u64 v[2:3], v[2:3], 3, v[0:1]
	global_store_dwordx2 v[2:3], v[4:5], off
	v_add_u32_e32 v2, 0x108, v16
	v_mov_b32_e32 v3, v17
	v_lshl_add_u64 v[2:3], v[2:3], 3, v[0:1]
	s_waitcnt lgkmcnt(0)
	global_store_dwordx2 v[2:3], v[6:7], off
	v_add_u32_e32 v2, 0x18c, v16
	v_mov_b32_e32 v3, v17
	v_lshl_add_u64 v[6:7], v[2:3], 3, v[0:1]
	v_add_u32_e32 v2, 0x1000, v10
	ds_read2_b64 v[2:5], v2 offset0:16 offset1:148
	global_store_dwordx2 v[6:7], v[8:9], off
	v_add_u32_e32 v6, 0x210, v16
	v_mov_b32_e32 v7, v17
	v_lshl_add_u64 v[6:7], v[6:7], 3, v[0:1]
	s_waitcnt lgkmcnt(0)
	global_store_dwordx2 v[6:7], v[2:3], off
	v_add_u32_e32 v6, 0x1800, v10
	ds_read2_b64 v[6:9], v6 offset0:24 offset1:156
	v_add_u32_e32 v2, 0x294, v16
	v_mov_b32_e32 v3, v17
	v_lshl_add_u64 v[2:3], v[2:3], 3, v[0:1]
	global_store_dwordx2 v[2:3], v[4:5], off
	v_add_u32_e32 v2, 0x318, v16
	v_mov_b32_e32 v3, v17
	v_lshl_add_u64 v[2:3], v[2:3], 3, v[0:1]
	s_waitcnt lgkmcnt(0)
	global_store_dwordx2 v[2:3], v[6:7], off
	v_add_u32_e32 v2, 0x39c, v16
	v_mov_b32_e32 v3, v17
	v_lshl_add_u64 v[6:7], v[2:3], 3, v[0:1]
	v_add_u32_e32 v2, 0x2000, v10
	ds_read2_b64 v[2:5], v2 offset0:32 offset1:164
	global_store_dwordx2 v[6:7], v[8:9], off
	v_add_u32_e32 v6, 0x420, v16
	v_mov_b32_e32 v7, v17
	v_lshl_add_u64 v[6:7], v[6:7], 3, v[0:1]
	s_waitcnt lgkmcnt(0)
	global_store_dwordx2 v[6:7], v[2:3], off
	ds_read_b64 v[6:7], v10 offset:10560
	v_add_u32_e32 v2, 0x4a4, v16
	v_mov_b32_e32 v3, v17
	v_lshl_add_u64 v[2:3], v[2:3], 3, v[0:1]
	global_store_dwordx2 v[2:3], v[4:5], off
	v_add_u32_e32 v2, 0x528, v16
	v_mov_b32_e32 v3, v17
	s_movk_i32 s0, 0x83
	v_lshl_add_u64 v[2:3], v[2:3], 3, v[0:1]
	v_cmp_eq_u32_e32 vcc, s0, v16
	s_waitcnt lgkmcnt(0)
	global_store_dwordx2 v[2:3], v[6:7], off
	s_and_b64 exec, exec, vcc
	s_cbranch_execz .LBB0_30
; %bb.29:
	ds_read_b64 v[2:3], v17 offset:11616
	v_add_co_u32_e32 v0, vcc, 0x2000, v0
	s_nop 1
	v_addc_co_u32_e32 v1, vcc, 0, v1, vcc
	s_waitcnt lgkmcnt(0)
	global_store_dwordx2 v[0:1], v[2:3], off offset:3424
.LBB0_30:
	s_endpgm
	.section	.rodata,"a",@progbits
	.p2align	6, 0x0
	.amdhsa_kernel fft_rtc_back_len1452_factors_11_3_11_4_wgs_132_tpt_132_halfLds_sp_op_CI_CI_unitstride_sbrr_R2C_dirReg
		.amdhsa_group_segment_fixed_size 0
		.amdhsa_private_segment_fixed_size 0
		.amdhsa_kernarg_size 104
		.amdhsa_user_sgpr_count 2
		.amdhsa_user_sgpr_dispatch_ptr 0
		.amdhsa_user_sgpr_queue_ptr 0
		.amdhsa_user_sgpr_kernarg_segment_ptr 1
		.amdhsa_user_sgpr_dispatch_id 0
		.amdhsa_user_sgpr_kernarg_preload_length 0
		.amdhsa_user_sgpr_kernarg_preload_offset 0
		.amdhsa_user_sgpr_private_segment_size 0
		.amdhsa_uses_dynamic_stack 0
		.amdhsa_enable_private_segment 0
		.amdhsa_system_sgpr_workgroup_id_x 1
		.amdhsa_system_sgpr_workgroup_id_y 0
		.amdhsa_system_sgpr_workgroup_id_z 0
		.amdhsa_system_sgpr_workgroup_info 0
		.amdhsa_system_vgpr_workitem_id 0
		.amdhsa_next_free_vgpr 126
		.amdhsa_next_free_sgpr 38
		.amdhsa_accum_offset 128
		.amdhsa_reserve_vcc 1
		.amdhsa_float_round_mode_32 0
		.amdhsa_float_round_mode_16_64 0
		.amdhsa_float_denorm_mode_32 3
		.amdhsa_float_denorm_mode_16_64 3
		.amdhsa_dx10_clamp 1
		.amdhsa_ieee_mode 1
		.amdhsa_fp16_overflow 0
		.amdhsa_tg_split 0
		.amdhsa_exception_fp_ieee_invalid_op 0
		.amdhsa_exception_fp_denorm_src 0
		.amdhsa_exception_fp_ieee_div_zero 0
		.amdhsa_exception_fp_ieee_overflow 0
		.amdhsa_exception_fp_ieee_underflow 0
		.amdhsa_exception_fp_ieee_inexact 0
		.amdhsa_exception_int_div_zero 0
	.end_amdhsa_kernel
	.text
.Lfunc_end0:
	.size	fft_rtc_back_len1452_factors_11_3_11_4_wgs_132_tpt_132_halfLds_sp_op_CI_CI_unitstride_sbrr_R2C_dirReg, .Lfunc_end0-fft_rtc_back_len1452_factors_11_3_11_4_wgs_132_tpt_132_halfLds_sp_op_CI_CI_unitstride_sbrr_R2C_dirReg
                                        ; -- End function
	.section	.AMDGPU.csdata,"",@progbits
; Kernel info:
; codeLenInByte = 10132
; NumSgprs: 44
; NumVgprs: 126
; NumAgprs: 0
; TotalNumVgprs: 126
; ScratchSize: 0
; MemoryBound: 0
; FloatMode: 240
; IeeeMode: 1
; LDSByteSize: 0 bytes/workgroup (compile time only)
; SGPRBlocks: 5
; VGPRBlocks: 15
; NumSGPRsForWavesPerEU: 44
; NumVGPRsForWavesPerEU: 126
; AccumOffset: 128
; Occupancy: 4
; WaveLimiterHint : 1
; COMPUTE_PGM_RSRC2:SCRATCH_EN: 0
; COMPUTE_PGM_RSRC2:USER_SGPR: 2
; COMPUTE_PGM_RSRC2:TRAP_HANDLER: 0
; COMPUTE_PGM_RSRC2:TGID_X_EN: 1
; COMPUTE_PGM_RSRC2:TGID_Y_EN: 0
; COMPUTE_PGM_RSRC2:TGID_Z_EN: 0
; COMPUTE_PGM_RSRC2:TIDIG_COMP_CNT: 0
; COMPUTE_PGM_RSRC3_GFX90A:ACCUM_OFFSET: 31
; COMPUTE_PGM_RSRC3_GFX90A:TG_SPLIT: 0
	.text
	.p2alignl 6, 3212836864
	.fill 256, 4, 3212836864
	.type	__hip_cuid_99e61f3798b2d0b7,@object ; @__hip_cuid_99e61f3798b2d0b7
	.section	.bss,"aw",@nobits
	.globl	__hip_cuid_99e61f3798b2d0b7
__hip_cuid_99e61f3798b2d0b7:
	.byte	0                               ; 0x0
	.size	__hip_cuid_99e61f3798b2d0b7, 1

	.ident	"AMD clang version 19.0.0git (https://github.com/RadeonOpenCompute/llvm-project roc-6.4.0 25133 c7fe45cf4b819c5991fe208aaa96edf142730f1d)"
	.section	".note.GNU-stack","",@progbits
	.addrsig
	.addrsig_sym __hip_cuid_99e61f3798b2d0b7
	.amdgpu_metadata
---
amdhsa.kernels:
  - .agpr_count:     0
    .args:
      - .actual_access:  read_only
        .address_space:  global
        .offset:         0
        .size:           8
        .value_kind:     global_buffer
      - .offset:         8
        .size:           8
        .value_kind:     by_value
      - .actual_access:  read_only
        .address_space:  global
        .offset:         16
        .size:           8
        .value_kind:     global_buffer
      - .actual_access:  read_only
        .address_space:  global
        .offset:         24
        .size:           8
        .value_kind:     global_buffer
      - .actual_access:  read_only
        .address_space:  global
        .offset:         32
        .size:           8
        .value_kind:     global_buffer
      - .offset:         40
        .size:           8
        .value_kind:     by_value
      - .actual_access:  read_only
        .address_space:  global
        .offset:         48
        .size:           8
        .value_kind:     global_buffer
      - .actual_access:  read_only
        .address_space:  global
        .offset:         56
        .size:           8
        .value_kind:     global_buffer
      - .offset:         64
        .size:           4
        .value_kind:     by_value
      - .actual_access:  read_only
        .address_space:  global
        .offset:         72
        .size:           8
        .value_kind:     global_buffer
      - .actual_access:  read_only
        .address_space:  global
        .offset:         80
        .size:           8
        .value_kind:     global_buffer
      - .actual_access:  read_only
        .address_space:  global
        .offset:         88
        .size:           8
        .value_kind:     global_buffer
      - .actual_access:  write_only
        .address_space:  global
        .offset:         96
        .size:           8
        .value_kind:     global_buffer
    .group_segment_fixed_size: 0
    .kernarg_segment_align: 8
    .kernarg_segment_size: 104
    .language:       OpenCL C
    .language_version:
      - 2
      - 0
    .max_flat_workgroup_size: 132
    .name:           fft_rtc_back_len1452_factors_11_3_11_4_wgs_132_tpt_132_halfLds_sp_op_CI_CI_unitstride_sbrr_R2C_dirReg
    .private_segment_fixed_size: 0
    .sgpr_count:     44
    .sgpr_spill_count: 0
    .symbol:         fft_rtc_back_len1452_factors_11_3_11_4_wgs_132_tpt_132_halfLds_sp_op_CI_CI_unitstride_sbrr_R2C_dirReg.kd
    .uniform_work_group_size: 1
    .uses_dynamic_stack: false
    .vgpr_count:     126
    .vgpr_spill_count: 0
    .wavefront_size: 64
amdhsa.target:   amdgcn-amd-amdhsa--gfx950
amdhsa.version:
  - 1
  - 2
...

	.end_amdgpu_metadata
